;; amdgpu-corpus repo=ROCm/rocFFT kind=compiled arch=gfx1201 opt=O3
	.text
	.amdgcn_target "amdgcn-amd-amdhsa--gfx1201"
	.amdhsa_code_object_version 6
	.protected	fft_rtc_back_len2430_factors_10_3_3_3_3_3_wgs_81_tpt_81_halfLds_sp_op_CI_CI_unitstride_sbrr_C2R_dirReg ; -- Begin function fft_rtc_back_len2430_factors_10_3_3_3_3_3_wgs_81_tpt_81_halfLds_sp_op_CI_CI_unitstride_sbrr_C2R_dirReg
	.globl	fft_rtc_back_len2430_factors_10_3_3_3_3_3_wgs_81_tpt_81_halfLds_sp_op_CI_CI_unitstride_sbrr_C2R_dirReg
	.p2align	8
	.type	fft_rtc_back_len2430_factors_10_3_3_3_3_3_wgs_81_tpt_81_halfLds_sp_op_CI_CI_unitstride_sbrr_C2R_dirReg,@function
fft_rtc_back_len2430_factors_10_3_3_3_3_3_wgs_81_tpt_81_halfLds_sp_op_CI_CI_unitstride_sbrr_C2R_dirReg: ; @fft_rtc_back_len2430_factors_10_3_3_3_3_3_wgs_81_tpt_81_halfLds_sp_op_CI_CI_unitstride_sbrr_C2R_dirReg
; %bb.0:
	s_clause 0x2
	s_load_b128 s[8:11], s[0:1], 0x0
	s_load_b128 s[4:7], s[0:1], 0x58
	;; [unrolled: 1-line block ×3, first 2 shown]
	v_mul_u32_u24_e32 v1, 0x32a, v0
	v_mov_b32_e32 v3, 0
	s_delay_alu instid0(VALU_DEP_2) | instskip(NEXT) | instid1(VALU_DEP_1)
	v_lshrrev_b32_e32 v1, 16, v1
	v_add_nc_u32_e32 v5, ttmp9, v1
	v_mov_b32_e32 v1, 0
	v_mov_b32_e32 v2, 0
	;; [unrolled: 1-line block ×3, first 2 shown]
	s_wait_kmcnt 0x0
	v_cmp_lt_u64_e64 s2, s[10:11], 2
	s_delay_alu instid0(VALU_DEP_1)
	s_and_b32 vcc_lo, exec_lo, s2
	s_cbranch_vccnz .LBB0_8
; %bb.1:
	s_load_b64 s[2:3], s[0:1], 0x10
	v_mov_b32_e32 v1, 0
	v_mov_b32_e32 v2, 0
	s_add_nc_u64 s[16:17], s[14:15], 8
	s_add_nc_u64 s[18:19], s[12:13], 8
	s_mov_b64 s[20:21], 1
	s_delay_alu instid0(VALU_DEP_1)
	v_dual_mov_b32 v43, v2 :: v_dual_mov_b32 v42, v1
	s_wait_kmcnt 0x0
	s_add_nc_u64 s[22:23], s[2:3], 8
	s_mov_b32 s3, 0
.LBB0_2:                                ; =>This Inner Loop Header: Depth=1
	s_load_b64 s[24:25], s[22:23], 0x0
                                        ; implicit-def: $vgpr44_vgpr45
	s_mov_b32 s2, exec_lo
	s_wait_kmcnt 0x0
	v_or_b32_e32 v4, s25, v6
	s_delay_alu instid0(VALU_DEP_1)
	v_cmpx_ne_u64_e32 0, v[3:4]
	s_wait_alu 0xfffe
	s_xor_b32 s26, exec_lo, s2
	s_cbranch_execz .LBB0_4
; %bb.3:                                ;   in Loop: Header=BB0_2 Depth=1
	s_cvt_f32_u32 s2, s24
	s_cvt_f32_u32 s27, s25
	s_sub_nc_u64 s[30:31], 0, s[24:25]
	s_wait_alu 0xfffe
	s_delay_alu instid0(SALU_CYCLE_1) | instskip(SKIP_1) | instid1(SALU_CYCLE_2)
	s_fmamk_f32 s2, s27, 0x4f800000, s2
	s_wait_alu 0xfffe
	v_s_rcp_f32 s2, s2
	s_delay_alu instid0(TRANS32_DEP_1) | instskip(SKIP_1) | instid1(SALU_CYCLE_2)
	s_mul_f32 s2, s2, 0x5f7ffffc
	s_wait_alu 0xfffe
	s_mul_f32 s27, s2, 0x2f800000
	s_wait_alu 0xfffe
	s_delay_alu instid0(SALU_CYCLE_2) | instskip(SKIP_1) | instid1(SALU_CYCLE_2)
	s_trunc_f32 s27, s27
	s_wait_alu 0xfffe
	s_fmamk_f32 s2, s27, 0xcf800000, s2
	s_cvt_u32_f32 s29, s27
	s_wait_alu 0xfffe
	s_delay_alu instid0(SALU_CYCLE_1) | instskip(SKIP_1) | instid1(SALU_CYCLE_2)
	s_cvt_u32_f32 s28, s2
	s_wait_alu 0xfffe
	s_mul_u64 s[34:35], s[30:31], s[28:29]
	s_wait_alu 0xfffe
	s_mul_hi_u32 s37, s28, s35
	s_mul_i32 s36, s28, s35
	s_mul_hi_u32 s2, s28, s34
	s_mul_i32 s33, s29, s34
	s_wait_alu 0xfffe
	s_add_nc_u64 s[36:37], s[2:3], s[36:37]
	s_mul_hi_u32 s27, s29, s34
	s_mul_hi_u32 s38, s29, s35
	s_add_co_u32 s2, s36, s33
	s_wait_alu 0xfffe
	s_add_co_ci_u32 s2, s37, s27
	s_mul_i32 s34, s29, s35
	s_add_co_ci_u32 s35, s38, 0
	s_wait_alu 0xfffe
	s_add_nc_u64 s[34:35], s[2:3], s[34:35]
	s_wait_alu 0xfffe
	v_add_co_u32 v4, s2, s28, s34
	s_delay_alu instid0(VALU_DEP_1) | instskip(SKIP_1) | instid1(VALU_DEP_1)
	s_cmp_lg_u32 s2, 0
	s_add_co_ci_u32 s29, s29, s35
	v_readfirstlane_b32 s28, v4
	s_wait_alu 0xfffe
	s_delay_alu instid0(VALU_DEP_1)
	s_mul_u64 s[30:31], s[30:31], s[28:29]
	s_wait_alu 0xfffe
	s_mul_hi_u32 s35, s28, s31
	s_mul_i32 s34, s28, s31
	s_mul_hi_u32 s2, s28, s30
	s_mul_i32 s33, s29, s30
	s_wait_alu 0xfffe
	s_add_nc_u64 s[34:35], s[2:3], s[34:35]
	s_mul_hi_u32 s27, s29, s30
	s_mul_hi_u32 s28, s29, s31
	s_wait_alu 0xfffe
	s_add_co_u32 s2, s34, s33
	s_add_co_ci_u32 s2, s35, s27
	s_mul_i32 s30, s29, s31
	s_add_co_ci_u32 s31, s28, 0
	s_wait_alu 0xfffe
	s_add_nc_u64 s[30:31], s[2:3], s[30:31]
	s_wait_alu 0xfffe
	v_add_co_u32 v4, s2, v4, s30
	s_delay_alu instid0(VALU_DEP_1) | instskip(SKIP_1) | instid1(VALU_DEP_1)
	s_cmp_lg_u32 s2, 0
	s_add_co_ci_u32 s2, s29, s31
	v_mul_hi_u32 v13, v5, v4
	s_wait_alu 0xfffe
	v_mad_co_u64_u32 v[7:8], null, v5, s2, 0
	v_mad_co_u64_u32 v[9:10], null, v6, v4, 0
	;; [unrolled: 1-line block ×3, first 2 shown]
	s_delay_alu instid0(VALU_DEP_3) | instskip(SKIP_1) | instid1(VALU_DEP_4)
	v_add_co_u32 v4, vcc_lo, v13, v7
	s_wait_alu 0xfffd
	v_add_co_ci_u32_e32 v7, vcc_lo, 0, v8, vcc_lo
	s_delay_alu instid0(VALU_DEP_2) | instskip(SKIP_1) | instid1(VALU_DEP_2)
	v_add_co_u32 v4, vcc_lo, v4, v9
	s_wait_alu 0xfffd
	v_add_co_ci_u32_e32 v4, vcc_lo, v7, v10, vcc_lo
	s_wait_alu 0xfffd
	v_add_co_ci_u32_e32 v7, vcc_lo, 0, v12, vcc_lo
	s_delay_alu instid0(VALU_DEP_2) | instskip(SKIP_1) | instid1(VALU_DEP_2)
	v_add_co_u32 v4, vcc_lo, v4, v11
	s_wait_alu 0xfffd
	v_add_co_ci_u32_e32 v9, vcc_lo, 0, v7, vcc_lo
	s_delay_alu instid0(VALU_DEP_2) | instskip(SKIP_1) | instid1(VALU_DEP_3)
	v_mul_lo_u32 v10, s25, v4
	v_mad_co_u64_u32 v[7:8], null, s24, v4, 0
	v_mul_lo_u32 v11, s24, v9
	s_delay_alu instid0(VALU_DEP_2) | instskip(NEXT) | instid1(VALU_DEP_2)
	v_sub_co_u32 v7, vcc_lo, v5, v7
	v_add3_u32 v8, v8, v11, v10
	s_delay_alu instid0(VALU_DEP_1) | instskip(SKIP_1) | instid1(VALU_DEP_1)
	v_sub_nc_u32_e32 v10, v6, v8
	s_wait_alu 0xfffd
	v_subrev_co_ci_u32_e64 v10, s2, s25, v10, vcc_lo
	v_add_co_u32 v11, s2, v4, 2
	s_wait_alu 0xf1ff
	v_add_co_ci_u32_e64 v12, s2, 0, v9, s2
	v_sub_co_u32 v13, s2, v7, s24
	v_sub_co_ci_u32_e32 v8, vcc_lo, v6, v8, vcc_lo
	s_wait_alu 0xf1ff
	v_subrev_co_ci_u32_e64 v10, s2, 0, v10, s2
	s_delay_alu instid0(VALU_DEP_3) | instskip(NEXT) | instid1(VALU_DEP_3)
	v_cmp_le_u32_e32 vcc_lo, s24, v13
	v_cmp_eq_u32_e64 s2, s25, v8
	s_wait_alu 0xfffd
	v_cndmask_b32_e64 v13, 0, -1, vcc_lo
	v_cmp_le_u32_e32 vcc_lo, s25, v10
	s_wait_alu 0xfffd
	v_cndmask_b32_e64 v14, 0, -1, vcc_lo
	v_cmp_le_u32_e32 vcc_lo, s24, v7
	;; [unrolled: 3-line block ×3, first 2 shown]
	s_wait_alu 0xfffd
	v_cndmask_b32_e64 v15, 0, -1, vcc_lo
	v_cmp_eq_u32_e32 vcc_lo, s25, v10
	s_wait_alu 0xf1ff
	s_delay_alu instid0(VALU_DEP_2)
	v_cndmask_b32_e64 v7, v15, v7, s2
	s_wait_alu 0xfffd
	v_cndmask_b32_e32 v10, v14, v13, vcc_lo
	v_add_co_u32 v13, vcc_lo, v4, 1
	s_wait_alu 0xfffd
	v_add_co_ci_u32_e32 v14, vcc_lo, 0, v9, vcc_lo
	s_delay_alu instid0(VALU_DEP_3) | instskip(SKIP_1) | instid1(VALU_DEP_2)
	v_cmp_ne_u32_e32 vcc_lo, 0, v10
	s_wait_alu 0xfffd
	v_cndmask_b32_e32 v8, v14, v12, vcc_lo
	v_cndmask_b32_e32 v10, v13, v11, vcc_lo
	v_cmp_ne_u32_e32 vcc_lo, 0, v7
	s_wait_alu 0xfffd
	s_delay_alu instid0(VALU_DEP_2)
	v_dual_cndmask_b32 v45, v9, v8 :: v_dual_cndmask_b32 v44, v4, v10
.LBB0_4:                                ;   in Loop: Header=BB0_2 Depth=1
	s_wait_alu 0xfffe
	s_and_not1_saveexec_b32 s2, s26
	s_cbranch_execz .LBB0_6
; %bb.5:                                ;   in Loop: Header=BB0_2 Depth=1
	v_cvt_f32_u32_e32 v4, s24
	s_sub_co_i32 s26, 0, s24
	v_mov_b32_e32 v45, v3
	s_delay_alu instid0(VALU_DEP_2) | instskip(NEXT) | instid1(TRANS32_DEP_1)
	v_rcp_iflag_f32_e32 v4, v4
	v_mul_f32_e32 v4, 0x4f7ffffe, v4
	s_delay_alu instid0(VALU_DEP_1) | instskip(SKIP_1) | instid1(VALU_DEP_1)
	v_cvt_u32_f32_e32 v4, v4
	s_wait_alu 0xfffe
	v_mul_lo_u32 v7, s26, v4
	s_delay_alu instid0(VALU_DEP_1) | instskip(NEXT) | instid1(VALU_DEP_1)
	v_mul_hi_u32 v7, v4, v7
	v_add_nc_u32_e32 v4, v4, v7
	s_delay_alu instid0(VALU_DEP_1) | instskip(NEXT) | instid1(VALU_DEP_1)
	v_mul_hi_u32 v4, v5, v4
	v_mul_lo_u32 v7, v4, s24
	v_add_nc_u32_e32 v8, 1, v4
	s_delay_alu instid0(VALU_DEP_2) | instskip(NEXT) | instid1(VALU_DEP_1)
	v_sub_nc_u32_e32 v7, v5, v7
	v_subrev_nc_u32_e32 v9, s24, v7
	v_cmp_le_u32_e32 vcc_lo, s24, v7
	s_wait_alu 0xfffd
	s_delay_alu instid0(VALU_DEP_2) | instskip(NEXT) | instid1(VALU_DEP_1)
	v_dual_cndmask_b32 v7, v7, v9 :: v_dual_cndmask_b32 v4, v4, v8
	v_cmp_le_u32_e32 vcc_lo, s24, v7
	s_delay_alu instid0(VALU_DEP_2) | instskip(SKIP_1) | instid1(VALU_DEP_1)
	v_add_nc_u32_e32 v8, 1, v4
	s_wait_alu 0xfffd
	v_cndmask_b32_e32 v44, v4, v8, vcc_lo
.LBB0_6:                                ;   in Loop: Header=BB0_2 Depth=1
	s_wait_alu 0xfffe
	s_or_b32 exec_lo, exec_lo, s2
	v_mul_lo_u32 v4, v45, s24
	s_delay_alu instid0(VALU_DEP_2)
	v_mul_lo_u32 v9, v44, s25
	s_load_b64 s[26:27], s[18:19], 0x0
	v_mad_co_u64_u32 v[7:8], null, v44, s24, 0
	s_load_b64 s[24:25], s[16:17], 0x0
	s_add_nc_u64 s[20:21], s[20:21], 1
	s_add_nc_u64 s[16:17], s[16:17], 8
	s_wait_alu 0xfffe
	v_cmp_ge_u64_e64 s2, s[20:21], s[10:11]
	s_add_nc_u64 s[18:19], s[18:19], 8
	s_add_nc_u64 s[22:23], s[22:23], 8
	v_add3_u32 v4, v8, v9, v4
	v_sub_co_u32 v5, vcc_lo, v5, v7
	s_wait_alu 0xfffd
	s_delay_alu instid0(VALU_DEP_2) | instskip(SKIP_2) | instid1(VALU_DEP_1)
	v_sub_co_ci_u32_e32 v4, vcc_lo, v6, v4, vcc_lo
	s_and_b32 vcc_lo, exec_lo, s2
	s_wait_kmcnt 0x0
	v_mul_lo_u32 v6, s26, v4
	v_mul_lo_u32 v7, s27, v5
	v_mad_co_u64_u32 v[1:2], null, s26, v5, v[1:2]
	v_mul_lo_u32 v4, s24, v4
	v_mul_lo_u32 v8, s25, v5
	v_mad_co_u64_u32 v[42:43], null, s24, v5, v[42:43]
	s_delay_alu instid0(VALU_DEP_4) | instskip(NEXT) | instid1(VALU_DEP_2)
	v_add3_u32 v2, v7, v2, v6
	v_add3_u32 v43, v8, v43, v4
	s_wait_alu 0xfffe
	s_cbranch_vccnz .LBB0_9
; %bb.7:                                ;   in Loop: Header=BB0_2 Depth=1
	v_dual_mov_b32 v5, v44 :: v_dual_mov_b32 v6, v45
	s_branch .LBB0_2
.LBB0_8:
	v_dual_mov_b32 v43, v2 :: v_dual_mov_b32 v42, v1
	v_dual_mov_b32 v45, v6 :: v_dual_mov_b32 v44, v5
.LBB0_9:
	s_load_b64 s[0:1], s[0:1], 0x28
	v_mul_hi_u32 v3, 0x3291620, v0
	s_lshl_b64 s[10:11], s[10:11], 3
                                        ; implicit-def: $vgpr40
	s_wait_alu 0xfffe
	s_add_nc_u64 s[2:3], s[14:15], s[10:11]
	s_wait_kmcnt 0x0
	v_cmp_gt_u64_e32 vcc_lo, s[0:1], v[44:45]
	v_cmp_le_u64_e64 s0, s[0:1], v[44:45]
	s_delay_alu instid0(VALU_DEP_1)
	s_and_saveexec_b32 s1, s0
	s_wait_alu 0xfffe
	s_xor_b32 s0, exec_lo, s1
; %bb.10:
	v_mul_u32_u24_e32 v1, 0x51, v3
                                        ; implicit-def: $vgpr3
	s_delay_alu instid0(VALU_DEP_1)
	v_sub_nc_u32_e32 v40, v0, v1
                                        ; implicit-def: $vgpr0
                                        ; implicit-def: $vgpr1_vgpr2
; %bb.11:
	s_wait_alu 0xfffe
	s_or_saveexec_b32 s1, s0
	s_load_b64 s[2:3], s[2:3], 0x0
	s_xor_b32 exec_lo, exec_lo, s1
	s_cbranch_execz .LBB0_15
; %bb.12:
	s_add_nc_u64 s[10:11], s[12:13], s[10:11]
	v_lshlrev_b64_e32 v[1:2], 3, v[1:2]
	s_load_b64 s[10:11], s[10:11], 0x0
	s_wait_kmcnt 0x0
	v_mul_lo_u32 v6, s11, v44
	v_mul_lo_u32 v7, s10, v45
	v_mad_co_u64_u32 v[4:5], null, s10, v44, 0
	s_delay_alu instid0(VALU_DEP_1) | instskip(SKIP_1) | instid1(VALU_DEP_2)
	v_add3_u32 v5, v5, v7, v6
	v_mul_u32_u24_e32 v6, 0x51, v3
	v_lshlrev_b64_e32 v[3:4], 3, v[4:5]
	s_delay_alu instid0(VALU_DEP_2) | instskip(NEXT) | instid1(VALU_DEP_1)
	v_sub_nc_u32_e32 v40, v0, v6
	v_lshlrev_b32_e32 v41, 3, v40
	s_delay_alu instid0(VALU_DEP_3) | instskip(SKIP_1) | instid1(VALU_DEP_4)
	v_add_co_u32 v0, s0, s4, v3
	s_wait_alu 0xf1ff
	v_add_co_ci_u32_e64 v3, s0, s5, v4, s0
	s_delay_alu instid0(VALU_DEP_2) | instskip(SKIP_1) | instid1(VALU_DEP_2)
	v_add_co_u32 v0, s0, v0, v1
	s_wait_alu 0xf1ff
	v_add_co_ci_u32_e64 v1, s0, v3, v2, s0
	s_delay_alu instid0(VALU_DEP_2) | instskip(SKIP_1) | instid1(VALU_DEP_2)
	v_add_co_u32 v2, s0, v0, v41
	s_wait_alu 0xf1ff
	v_add_co_ci_u32_e64 v3, s0, 0, v1, s0
	s_clause 0x1d
	global_load_b64 v[4:5], v[2:3], off
	global_load_b64 v[6:7], v[2:3], off offset:648
	global_load_b64 v[8:9], v[2:3], off offset:1296
	global_load_b64 v[10:11], v[2:3], off offset:1944
	global_load_b64 v[12:13], v[2:3], off offset:2592
	global_load_b64 v[14:15], v[2:3], off offset:3240
	global_load_b64 v[16:17], v[2:3], off offset:3888
	global_load_b64 v[18:19], v[2:3], off offset:4536
	global_load_b64 v[20:21], v[2:3], off offset:5184
	global_load_b64 v[22:23], v[2:3], off offset:5832
	global_load_b64 v[24:25], v[2:3], off offset:6480
	global_load_b64 v[26:27], v[2:3], off offset:7128
	global_load_b64 v[28:29], v[2:3], off offset:7776
	global_load_b64 v[30:31], v[2:3], off offset:8424
	global_load_b64 v[32:33], v[2:3], off offset:9072
	global_load_b64 v[34:35], v[2:3], off offset:9720
	global_load_b64 v[36:37], v[2:3], off offset:10368
	global_load_b64 v[38:39], v[2:3], off offset:11016
	global_load_b64 v[46:47], v[2:3], off offset:11664
	global_load_b64 v[48:49], v[2:3], off offset:12312
	global_load_b64 v[50:51], v[2:3], off offset:12960
	global_load_b64 v[52:53], v[2:3], off offset:13608
	global_load_b64 v[54:55], v[2:3], off offset:14256
	global_load_b64 v[56:57], v[2:3], off offset:14904
	global_load_b64 v[58:59], v[2:3], off offset:15552
	global_load_b64 v[60:61], v[2:3], off offset:16200
	global_load_b64 v[62:63], v[2:3], off offset:16848
	global_load_b64 v[64:65], v[2:3], off offset:17496
	global_load_b64 v[66:67], v[2:3], off offset:18144
	global_load_b64 v[2:3], v[2:3], off offset:18792
	v_add_nc_u32_e32 v41, 0, v41
	v_cmp_eq_u32_e64 s0, 0x50, v40
	s_delay_alu instid0(VALU_DEP_2)
	v_add_nc_u32_e32 v68, 0x800, v41
	v_add_nc_u32_e32 v69, 0xc00, v41
	v_add_nc_u32_e32 v70, 0x1000, v41
	v_add_nc_u32_e32 v71, 0x1800, v41
	v_add_nc_u32_e32 v72, 0x1c00, v41
	v_add_nc_u32_e32 v73, 0x2000, v41
	v_add_nc_u32_e32 v74, 0x2800, v41
	v_add_nc_u32_e32 v75, 0x2c00, v41
	v_add_nc_u32_e32 v76, 0x3000, v41
	v_add_nc_u32_e32 v77, 0x3400, v41
	v_add_nc_u32_e32 v78, 0x3800, v41
	v_add_nc_u32_e32 v79, 0x4000, v41
	v_add_nc_u32_e32 v80, 0x4400, v41
	s_wait_loadcnt 0x1c
	ds_store_2addr_b64 v41, v[4:5], v[6:7] offset1:81
	s_wait_loadcnt 0x1a
	ds_store_2addr_b64 v41, v[8:9], v[10:11] offset0:162 offset1:243
	s_wait_loadcnt 0x18
	ds_store_2addr_b64 v68, v[12:13], v[14:15] offset0:68 offset1:149
	;; [unrolled: 2-line block ×14, first 2 shown]
	s_and_saveexec_b32 s4, s0
	s_cbranch_execz .LBB0_14
; %bb.13:
	global_load_b64 v[0:1], v[0:1], off offset:19440
	v_mov_b32_e32 v2, 0
	v_mov_b32_e32 v40, 0x50
	s_wait_loadcnt 0x0
	ds_store_b64 v2, v[0:1] offset:19440
.LBB0_14:
	s_wait_alu 0xfffe
	s_or_b32 exec_lo, exec_lo, s4
.LBB0_15:
	s_delay_alu instid0(SALU_CYCLE_1)
	s_or_b32 exec_lo, exec_lo, s1
	v_lshlrev_b32_e32 v0, 3, v40
	global_wb scope:SCOPE_SE
	s_wait_dscnt 0x0
	s_wait_kmcnt 0x0
	s_barrier_signal -1
	s_barrier_wait -1
	global_inv scope:SCOPE_SE
	v_add_nc_u32_e32 v54, 0, v0
	v_sub_nc_u32_e32 v4, 0, v0
	s_mov_b32 s1, exec_lo
                                        ; implicit-def: $vgpr2_vgpr3
	ds_load_b32 v5, v54
	ds_load_b32 v6, v4 offset:19440
	s_wait_dscnt 0x0
	v_dual_sub_f32 v1, v5, v6 :: v_dual_add_f32 v0, v6, v5
	v_cmpx_ne_u32_e32 0, v40
	s_wait_alu 0xfffe
	s_xor_b32 s1, exec_lo, s1
	s_cbranch_execz .LBB0_17
; %bb.16:
	v_dual_mov_b32 v41, 0 :: v_dual_sub_f32 v8, v5, v6
	s_delay_alu instid0(VALU_DEP_1) | instskip(NEXT) | instid1(VALU_DEP_1)
	v_lshlrev_b64_e32 v[0:1], 3, v[40:41]
	v_add_co_u32 v0, s0, s8, v0
	s_wait_alu 0xf1ff
	s_delay_alu instid0(VALU_DEP_2)
	v_add_co_ci_u32_e64 v1, s0, s9, v1, s0
	global_load_b64 v[2:3], v[0:1], off offset:19360
	ds_load_b32 v0, v4 offset:19444
	ds_load_b32 v1, v54 offset:4
	v_add_f32_e32 v7, v6, v5
	s_wait_dscnt 0x0
	v_dual_add_f32 v9, v0, v1 :: v_dual_sub_f32 v0, v1, v0
	s_wait_loadcnt 0x0
	s_delay_alu instid0(VALU_DEP_2) | instskip(NEXT) | instid1(VALU_DEP_2)
	v_fma_f32 v5, -v8, v3, v7
	v_fma_f32 v6, v9, v3, -v0
	v_fma_f32 v10, v8, v3, v7
	v_fma_f32 v1, v9, v3, v0
	s_delay_alu instid0(VALU_DEP_3) | instskip(NEXT) | instid1(VALU_DEP_3)
	v_dual_fmac_f32 v5, v2, v9 :: v_dual_fmac_f32 v6, v8, v2
	v_fma_f32 v0, -v2, v9, v10
	s_delay_alu instid0(VALU_DEP_3)
	v_fmac_f32_e32 v1, v8, v2
	v_dual_mov_b32 v2, v40 :: v_dual_mov_b32 v3, v41
	ds_store_b64 v4, v[5:6] offset:19440
.LBB0_17:
	s_wait_alu 0xfffe
	s_and_not1_saveexec_b32 s0, s1
	s_cbranch_execz .LBB0_19
; %bb.18:
	v_mov_b32_e32 v7, 0
	ds_load_b64 v[2:3], v7 offset:9720
	s_wait_dscnt 0x0
	v_dual_mul_f32 v6, -2.0, v3 :: v_dual_add_f32 v5, v2, v2
	v_mov_b32_e32 v2, 0
	v_mov_b32_e32 v3, 0
	ds_store_b64 v7, v[5:6] offset:9720
.LBB0_19:
	s_wait_alu 0xfffe
	s_or_b32 exec_lo, exec_lo, s0
	v_lshlrev_b64_e32 v[2:3], 3, v[2:3]
	s_add_nc_u64 s[0:1], s[8:9], 0x4ba0
	v_add_nc_u32_e32 v41, 0x1c00, v54
	v_add_nc_u32_e32 v57, 0x3800, v54
	v_add_nc_u32_e32 v56, 0x2c00, v54
	v_add_nc_u32_e32 v58, 0x1000, v54
	s_wait_alu 0xfffe
	v_add_co_u32 v2, s0, s0, v2
	s_wait_alu 0xf1ff
	v_add_co_ci_u32_e64 v3, s0, s1, v3, s0
	s_clause 0x6
	global_load_b64 v[5:6], v[2:3], off offset:648
	global_load_b64 v[7:8], v[2:3], off offset:1296
	;; [unrolled: 1-line block ×7, first 2 shown]
	ds_store_b64 v54, v[0:1]
	ds_load_b64 v[0:1], v54 offset:648
	ds_load_b64 v[19:20], v4 offset:18792
	global_load_b64 v[21:22], v[2:3], off offset:5184
	v_cmp_gt_u32_e64 s0, 9, v40
	v_add_nc_u32_e32 v60, 0x4000, v54
	v_add_nc_u32_e32 v64, 0x800, v54
	;; [unrolled: 1-line block ×5, first 2 shown]
	s_wait_dscnt 0x0
	v_add_f32_e32 v23, v0, v19
	v_add_f32_e32 v24, v20, v1
	v_dual_sub_f32 v25, v0, v19 :: v_dual_sub_f32 v0, v1, v20
	s_wait_loadcnt 0x7
	s_delay_alu instid0(VALU_DEP_1) | instskip(NEXT) | instid1(VALU_DEP_2)
	v_fma_f32 v26, v25, v6, v23
	v_fma_f32 v1, v24, v6, v0
	v_fma_f32 v19, -v25, v6, v23
	v_fma_f32 v20, v24, v6, -v0
	s_delay_alu instid0(VALU_DEP_4) | instskip(NEXT) | instid1(VALU_DEP_4)
	v_fma_f32 v0, -v5, v24, v26
	v_fmac_f32_e32 v1, v25, v5
	s_delay_alu instid0(VALU_DEP_4) | instskip(NEXT) | instid1(VALU_DEP_4)
	v_fmac_f32_e32 v19, v5, v24
	v_fmac_f32_e32 v20, v25, v5
	ds_store_b64 v54, v[0:1] offset:648
	ds_store_b64 v4, v[19:20] offset:18792
	ds_load_b64 v[0:1], v54 offset:1296
	ds_load_b64 v[5:6], v4 offset:18144
	global_load_b64 v[19:20], v[2:3], off offset:5832
	s_wait_dscnt 0x0
	v_add_f32_e32 v23, v0, v5
	v_add_f32_e32 v24, v6, v1
	v_dual_sub_f32 v25, v0, v5 :: v_dual_sub_f32 v0, v1, v6
	s_wait_loadcnt 0x7
	s_delay_alu instid0(VALU_DEP_1) | instskip(NEXT) | instid1(VALU_DEP_2)
	v_fma_f32 v26, v25, v8, v23
	v_fma_f32 v1, v24, v8, v0
	v_fma_f32 v5, -v25, v8, v23
	v_fma_f32 v6, v24, v8, -v0
	s_delay_alu instid0(VALU_DEP_4) | instskip(NEXT) | instid1(VALU_DEP_4)
	v_fma_f32 v0, -v7, v24, v26
	v_fmac_f32_e32 v1, v25, v7
	s_delay_alu instid0(VALU_DEP_3)
	v_dual_fmac_f32 v5, v7, v24 :: v_dual_fmac_f32 v6, v25, v7
	ds_store_b64 v54, v[0:1] offset:1296
	ds_store_b64 v4, v[5:6] offset:18144
	ds_load_b64 v[0:1], v54 offset:1944
	ds_load_b64 v[5:6], v4 offset:17496
	global_load_b64 v[7:8], v[2:3], off offset:6480
	s_wait_dscnt 0x0
	v_add_f32_e32 v23, v0, v5
	v_add_f32_e32 v24, v6, v1
	v_dual_sub_f32 v25, v0, v5 :: v_dual_sub_f32 v0, v1, v6
	s_wait_loadcnt 0x7
	s_delay_alu instid0(VALU_DEP_1) | instskip(NEXT) | instid1(VALU_DEP_2)
	v_fma_f32 v26, v25, v10, v23
	v_fma_f32 v1, v24, v10, v0
	v_fma_f32 v5, -v25, v10, v23
	v_fma_f32 v6, v24, v10, -v0
	s_delay_alu instid0(VALU_DEP_4) | instskip(NEXT) | instid1(VALU_DEP_4)
	v_fma_f32 v0, -v9, v24, v26
	v_fmac_f32_e32 v1, v25, v9
	s_delay_alu instid0(VALU_DEP_4) | instskip(NEXT) | instid1(VALU_DEP_4)
	v_fmac_f32_e32 v5, v9, v24
	v_fmac_f32_e32 v6, v25, v9
	ds_store_b64 v54, v[0:1] offset:1944
	ds_store_b64 v4, v[5:6] offset:17496
	ds_load_b64 v[0:1], v54 offset:2592
	ds_load_b64 v[5:6], v4 offset:16848
	global_load_b64 v[9:10], v[2:3], off offset:7128
	s_wait_dscnt 0x0
	v_add_f32_e32 v24, v6, v1
	v_sub_f32_e32 v25, v0, v5
	v_dual_add_f32 v23, v0, v5 :: v_dual_sub_f32 v0, v1, v6
	s_wait_loadcnt 0x7
	s_delay_alu instid0(VALU_DEP_1) | instskip(SKIP_1) | instid1(VALU_DEP_2)
	v_fma_f32 v6, v24, v12, -v0
	v_fma_f32 v1, v24, v12, v0
	v_fmac_f32_e32 v6, v25, v11
	v_fma_f32 v26, v25, v12, v23
	v_fma_f32 v5, -v25, v12, v23
	s_delay_alu instid0(VALU_DEP_4) | instskip(NEXT) | instid1(VALU_DEP_3)
	v_fmac_f32_e32 v1, v25, v11
	v_fma_f32 v0, -v11, v24, v26
	s_delay_alu instid0(VALU_DEP_3)
	v_fmac_f32_e32 v5, v11, v24
	ds_store_b64 v54, v[0:1] offset:2592
	ds_store_b64 v4, v[5:6] offset:16848
	ds_load_b64 v[0:1], v54 offset:3240
	ds_load_b64 v[5:6], v4 offset:16200
	global_load_b64 v[11:12], v[2:3], off offset:7776
	s_wait_dscnt 0x0
	v_add_f32_e32 v23, v0, v5
	v_add_f32_e32 v24, v6, v1
	v_dual_sub_f32 v25, v0, v5 :: v_dual_sub_f32 v0, v1, v6
	s_wait_loadcnt 0x7
	s_delay_alu instid0(VALU_DEP_1) | instskip(NEXT) | instid1(VALU_DEP_2)
	v_fma_f32 v26, v25, v14, v23
	v_fma_f32 v1, v24, v14, v0
	v_fma_f32 v5, -v25, v14, v23
	v_fma_f32 v6, v24, v14, -v0
	s_delay_alu instid0(VALU_DEP_4) | instskip(NEXT) | instid1(VALU_DEP_4)
	v_fma_f32 v0, -v13, v24, v26
	v_fmac_f32_e32 v1, v25, v13
	s_delay_alu instid0(VALU_DEP_4) | instskip(NEXT) | instid1(VALU_DEP_4)
	v_fmac_f32_e32 v5, v13, v24
	v_fmac_f32_e32 v6, v25, v13
	ds_store_b64 v54, v[0:1] offset:3240
	ds_store_b64 v4, v[5:6] offset:16200
	ds_load_b64 v[0:1], v54 offset:3888
	ds_load_b64 v[5:6], v4 offset:15552
	global_load_b64 v[13:14], v[2:3], off offset:8424
	s_wait_dscnt 0x0
	v_add_f32_e32 v24, v6, v1
	v_sub_f32_e32 v25, v0, v5
	v_dual_add_f32 v23, v0, v5 :: v_dual_sub_f32 v0, v1, v6
	s_wait_loadcnt 0x7
	s_delay_alu instid0(VALU_DEP_1) | instskip(SKIP_1) | instid1(VALU_DEP_2)
	v_fma_f32 v6, v24, v16, -v0
	v_fma_f32 v1, v24, v16, v0
	v_fmac_f32_e32 v6, v25, v15
	v_fma_f32 v26, v25, v16, v23
	v_fma_f32 v5, -v25, v16, v23
	s_delay_alu instid0(VALU_DEP_4) | instskip(NEXT) | instid1(VALU_DEP_3)
	v_fmac_f32_e32 v1, v25, v15
	v_fma_f32 v0, -v15, v24, v26
	s_delay_alu instid0(VALU_DEP_3)
	v_fmac_f32_e32 v5, v15, v24
	ds_store_b64 v54, v[0:1] offset:3888
	ds_store_b64 v4, v[5:6] offset:15552
	ds_load_b64 v[0:1], v54 offset:4536
	ds_load_b64 v[5:6], v4 offset:14904
	global_load_b64 v[2:3], v[2:3], off offset:9072
	s_wait_dscnt 0x0
	v_add_f32_e32 v15, v0, v5
	v_add_f32_e32 v16, v6, v1
	v_dual_sub_f32 v23, v0, v5 :: v_dual_sub_f32 v0, v1, v6
	s_wait_loadcnt 0x7
	s_delay_alu instid0(VALU_DEP_1) | instskip(NEXT) | instid1(VALU_DEP_2)
	v_fma_f32 v24, v23, v18, v15
	v_fma_f32 v1, v16, v18, v0
	v_fma_f32 v5, -v23, v18, v15
	v_fma_f32 v6, v16, v18, -v0
	s_delay_alu instid0(VALU_DEP_4) | instskip(NEXT) | instid1(VALU_DEP_4)
	v_fma_f32 v0, -v17, v16, v24
	v_fmac_f32_e32 v1, v23, v17
	s_delay_alu instid0(VALU_DEP_3)
	v_dual_fmac_f32 v5, v17, v16 :: v_dual_fmac_f32 v6, v23, v17
	ds_store_b64 v54, v[0:1] offset:4536
	ds_store_b64 v4, v[5:6] offset:14904
	ds_load_b64 v[0:1], v54 offset:5184
	ds_load_b64 v[5:6], v4 offset:14256
	s_wait_dscnt 0x0
	v_add_f32_e32 v16, v6, v1
	v_add_f32_e32 v15, v0, v5
	v_dual_sub_f32 v17, v0, v5 :: v_dual_sub_f32 v0, v1, v6
	s_wait_loadcnt 0x6
	s_delay_alu instid0(VALU_DEP_1) | instskip(NEXT) | instid1(VALU_DEP_2)
	v_fma_f32 v18, v17, v22, v15
	v_fma_f32 v1, v16, v22, v0
	v_fma_f32 v5, -v17, v22, v15
	v_fma_f32 v6, v16, v22, -v0
	s_delay_alu instid0(VALU_DEP_4) | instskip(NEXT) | instid1(VALU_DEP_4)
	v_fma_f32 v0, -v21, v16, v18
	v_fmac_f32_e32 v1, v17, v21
	s_delay_alu instid0(VALU_DEP_4) | instskip(NEXT) | instid1(VALU_DEP_4)
	v_fmac_f32_e32 v5, v21, v16
	v_fmac_f32_e32 v6, v17, v21
	ds_store_b64 v54, v[0:1] offset:5184
	ds_store_b64 v4, v[5:6] offset:14256
	ds_load_b64 v[0:1], v54 offset:5832
	ds_load_b64 v[5:6], v4 offset:13608
	s_wait_dscnt 0x0
	v_add_f32_e32 v15, v0, v5
	v_add_f32_e32 v16, v6, v1
	v_dual_sub_f32 v17, v0, v5 :: v_dual_sub_f32 v0, v1, v6
	s_wait_loadcnt 0x5
	s_delay_alu instid0(VALU_DEP_1) | instskip(NEXT) | instid1(VALU_DEP_2)
	v_fma_f32 v18, v17, v20, v15
	v_fma_f32 v1, v16, v20, v0
	v_fma_f32 v5, -v17, v20, v15
	v_fma_f32 v6, v16, v20, -v0
	s_delay_alu instid0(VALU_DEP_4) | instskip(NEXT) | instid1(VALU_DEP_4)
	v_fma_f32 v0, -v19, v16, v18
	v_fmac_f32_e32 v1, v17, v19
	s_delay_alu instid0(VALU_DEP_3)
	v_dual_fmac_f32 v5, v19, v16 :: v_dual_fmac_f32 v6, v17, v19
	ds_store_b64 v54, v[0:1] offset:5832
	ds_store_b64 v4, v[5:6] offset:13608
	ds_load_b64 v[0:1], v54 offset:6480
	ds_load_b64 v[5:6], v4 offset:12960
	s_wait_dscnt 0x0
	v_add_f32_e32 v15, v0, v5
	v_sub_f32_e32 v17, v0, v5
	v_add_f32_e32 v16, v6, v1
	v_sub_f32_e32 v0, v1, v6
	s_wait_loadcnt 0x4
	s_delay_alu instid0(VALU_DEP_3) | instskip(NEXT) | instid1(VALU_DEP_2)
	v_fma_f32 v18, v17, v8, v15
	v_fma_f32 v1, v16, v8, v0
	v_fma_f32 v5, -v17, v8, v15
	s_delay_alu instid0(VALU_DEP_2) | instskip(SKIP_2) | instid1(VALU_DEP_2)
	v_fmac_f32_e32 v1, v17, v7
	v_fma_f32 v6, v16, v8, -v0
	v_fma_f32 v0, -v7, v16, v18
	v_dual_fmac_f32 v5, v7, v16 :: v_dual_fmac_f32 v6, v17, v7
	ds_store_b64 v54, v[0:1] offset:6480
	ds_store_b64 v4, v[5:6] offset:12960
	ds_load_b64 v[0:1], v54 offset:7128
	ds_load_b64 v[5:6], v4 offset:12312
	s_wait_dscnt 0x0
	v_add_f32_e32 v8, v6, v1
	v_add_f32_e32 v7, v0, v5
	v_dual_sub_f32 v15, v0, v5 :: v_dual_sub_f32 v0, v1, v6
	s_wait_loadcnt 0x3
	s_delay_alu instid0(VALU_DEP_1) | instskip(NEXT) | instid1(VALU_DEP_2)
	v_fma_f32 v16, v15, v10, v7
	v_fma_f32 v1, v8, v10, v0
	v_fma_f32 v5, -v15, v10, v7
	v_fma_f32 v6, v8, v10, -v0
	s_delay_alu instid0(VALU_DEP_4) | instskip(NEXT) | instid1(VALU_DEP_4)
	v_fma_f32 v0, -v9, v8, v16
	v_fmac_f32_e32 v1, v15, v9
	s_delay_alu instid0(VALU_DEP_3)
	v_dual_fmac_f32 v5, v9, v8 :: v_dual_fmac_f32 v6, v15, v9
	ds_store_b64 v54, v[0:1] offset:7128
	ds_store_b64 v4, v[5:6] offset:12312
	ds_load_b64 v[0:1], v54 offset:7776
	ds_load_b64 v[5:6], v4 offset:11664
	s_wait_dscnt 0x0
	v_add_f32_e32 v7, v0, v5
	v_sub_f32_e32 v9, v0, v5
	v_add_f32_e32 v8, v6, v1
	v_sub_f32_e32 v0, v1, v6
	s_wait_loadcnt 0x2
	s_delay_alu instid0(VALU_DEP_1) | instskip(SKIP_2) | instid1(VALU_DEP_3)
	v_fma_f32 v1, v8, v12, v0
	v_fma_f32 v10, v9, v12, v7
	v_fma_f32 v5, -v9, v12, v7
	v_fmac_f32_e32 v1, v9, v11
	v_fma_f32 v6, v8, v12, -v0
	s_delay_alu instid0(VALU_DEP_4) | instskip(NEXT) | instid1(VALU_DEP_2)
	v_fma_f32 v0, -v11, v8, v10
	v_dual_fmac_f32 v5, v11, v8 :: v_dual_fmac_f32 v6, v9, v11
	ds_store_b64 v54, v[0:1] offset:7776
	ds_store_b64 v4, v[5:6] offset:11664
	ds_load_b64 v[0:1], v54 offset:8424
	ds_load_b64 v[5:6], v4 offset:11016
	s_wait_dscnt 0x0
	v_add_f32_e32 v8, v6, v1
	v_add_f32_e32 v7, v0, v5
	v_dual_sub_f32 v9, v0, v5 :: v_dual_sub_f32 v0, v1, v6
	s_wait_loadcnt 0x1
	s_delay_alu instid0(VALU_DEP_1) | instskip(NEXT) | instid1(VALU_DEP_2)
	v_fma_f32 v10, v9, v14, v7
	v_fma_f32 v1, v8, v14, v0
	v_fma_f32 v5, -v9, v14, v7
	v_fma_f32 v6, v8, v14, -v0
	s_delay_alu instid0(VALU_DEP_4) | instskip(NEXT) | instid1(VALU_DEP_4)
	v_fma_f32 v0, -v13, v8, v10
	v_fmac_f32_e32 v1, v9, v13
	s_delay_alu instid0(VALU_DEP_4) | instskip(NEXT) | instid1(VALU_DEP_4)
	v_fmac_f32_e32 v5, v13, v8
	v_fmac_f32_e32 v6, v9, v13
	ds_store_b64 v54, v[0:1] offset:8424
	ds_store_b64 v4, v[5:6] offset:11016
	ds_load_b64 v[0:1], v54 offset:9072
	ds_load_b64 v[5:6], v4 offset:10368
	s_wait_dscnt 0x0
	v_add_f32_e32 v7, v0, v5
	v_add_f32_e32 v8, v6, v1
	v_dual_sub_f32 v9, v0, v5 :: v_dual_sub_f32 v0, v1, v6
	s_wait_loadcnt 0x0
	s_delay_alu instid0(VALU_DEP_1) | instskip(NEXT) | instid1(VALU_DEP_2)
	v_fma_f32 v10, v9, v3, v7
	v_fma_f32 v1, v8, v3, v0
	v_fma_f32 v5, -v9, v3, v7
	v_fma_f32 v6, v8, v3, -v0
	s_delay_alu instid0(VALU_DEP_4) | instskip(NEXT) | instid1(VALU_DEP_4)
	v_fma_f32 v0, -v2, v8, v10
	v_fmac_f32_e32 v1, v9, v2
	s_delay_alu instid0(VALU_DEP_3)
	v_dual_fmac_f32 v5, v2, v8 :: v_dual_fmac_f32 v6, v9, v2
	ds_store_b64 v54, v[0:1] offset:9072
	ds_store_b64 v4, v[5:6] offset:10368
	global_wb scope:SCOPE_SE
	s_wait_dscnt 0x0
	s_barrier_signal -1
	s_barrier_wait -1
	global_inv scope:SCOPE_SE
	global_wb scope:SCOPE_SE
	s_barrier_signal -1
	s_barrier_wait -1
	global_inv scope:SCOPE_SE
	ds_load_2addr_b64 v[0:3], v54 offset1:81
	ds_load_2addr_b64 v[24:27], v55 offset0:102 offset1:183
	ds_load_2addr_b64 v[20:23], v41 offset0:76 offset1:157
	;; [unrolled: 1-line block ×4, first 2 shown]
	v_add_nc_u32_e32 v59, 0x2000, v54
	v_add_nc_u32_e32 v61, 0x3000, v54
	;; [unrolled: 1-line block ×3, first 2 shown]
	s_wait_dscnt 0x3
	v_dual_add_f32 v100, v1, v25 :: v_dual_add_nc_u32 v65, 0x3400, v54
	s_wait_dscnt 0x2
	v_sub_f32_e32 v68, v20, v24
	s_wait_dscnt 0x1
	v_add_f32_e32 v74, v21, v13
	s_wait_dscnt 0x0
	v_sub_f32_e32 v70, v12, v16
	ds_load_2addr_b64 v[4:7], v54 offset0:162 offset1:243
	ds_load_2addr_b64 v[88:91], v58 offset0:136 offset1:217
	;; [unrolled: 1-line block ×9, first 2 shown]
	v_dual_add_f32 v52, v0, v24 :: v_dual_sub_f32 v67, v21, v25
	v_dual_add_f32 v108, v3, v27 :: v_dual_add_f32 v107, v2, v26
	v_dual_sub_f32 v29, v21, v13 :: v_dual_sub_f32 v28, v20, v12
	v_sub_f32_e32 v37, v24, v16
	v_sub_f32_e32 v139, v25, v21
	;; [unrolled: 1-line block ×3, first 2 shown]
	v_dual_sub_f32 v85, v18, v14 :: v_dual_sub_f32 v86, v27, v23
	v_sub_f32_e32 v96, v23, v27
	s_wait_dscnt 0x7
	v_dual_add_f32 v103, v7, v91 :: v_dual_add_f32 v110, v4, v88
	s_wait_dscnt 0x4
	v_dual_add_f32 v102, v6, v90 :: v_dual_sub_f32 v51, v91, v133
	v_sub_f32_e32 v94, v14, v18
	v_sub_f32_e32 v46, v90, v116
	v_add_f32_e32 v81, v90, v132
	v_dual_sub_f32 v47, v116, v90 :: v_dual_sub_f32 v48, v91, v117
	v_dual_sub_f32 v101, v117, v91 :: v_dual_sub_f32 v92, v88, v114
	s_wait_dscnt 0x2
	v_dual_sub_f32 v33, v26, v18 :: v_dual_add_f32 v118, v11, v144
	v_dual_add_f32 v113, v27, v19 :: v_dual_add_f32 v112, v5, v89
	v_sub_f32_e32 v87, v114, v88
	v_dual_sub_f32 v93, v89, v115 :: v_dual_add_f32 v52, v52, v20
	v_dual_sub_f32 v99, v115, v89 :: v_dual_add_f32 v102, v102, v116
	;; [unrolled: 1-line block ×3, first 2 shown]
	v_sub_f32_e32 v27, v89, v131
	v_add_f32_e32 v105, v89, v131
	s_wait_dscnt 0x1
	v_dual_add_f32 v89, v8, v141 :: v_dual_sub_f32 v122, v147, v143
	v_dual_add_f32 v90, v9, v142 :: v_dual_add_f32 v91, v10, v143
	v_dual_add_f32 v21, v100, v21 :: v_dual_sub_f32 v120, v125, v130
	v_dual_add_f32 v100, v107, v22 :: v_dual_add_f32 v107, v108, v23
	v_add_f32_e32 v108, v110, v114
	v_add_f32_e32 v72, v20, v12
	v_sub_f32_e32 v36, v25, v17
	v_sub_f32_e32 v50, v24, v20
	;; [unrolled: 1-line block ×3, first 2 shown]
	v_dual_add_f32 v73, v24, v16 :: v_dual_sub_f32 v140, v17, v13
	v_dual_add_f32 v77, v25, v17 :: v_dual_sub_f32 v38, v116, v127
	v_dual_sub_f32 v137, v13, v17 :: v_dual_sub_f32 v32, v22, v14
	v_add_f32_e32 v80, v116, v127
	v_sub_f32_e32 v30, v117, v128
	v_dual_add_f32 v82, v117, v128 :: v_dual_add_f32 v35, v22, v14
	v_sub_f32_e32 v106, v15, v19
	v_sub_f32_e32 v34, v23, v15
	;; [unrolled: 1-line block ×3, first 2 shown]
	v_dual_sub_f32 v83, v22, v26 :: v_dual_sub_f32 v76, v132, v127
	v_add_f32_e32 v109, v23, v15
	v_dual_add_f32 v39, v26, v18 :: v_dual_sub_f32 v124, v133, v128
	v_dual_add_f32 v69, v114, v125 :: v_dual_add_f32 v98, v115, v126
	v_dual_sub_f32 v25, v115, v126 :: v_dual_sub_f32 v104, v141, v145
	v_dual_sub_f32 v24, v114, v125 :: v_dual_sub_f32 v95, v19, v15
	s_wait_dscnt 0x0
	v_dual_sub_f32 v22, v145, v149 :: v_dual_add_f32 v71, v88, v130
	v_sub_f32_e32 v26, v88, v130
	v_add_f32_e32 v88, v147, v151
	v_dual_sub_f32 v49, v127, v132 :: v_dual_add_f32 v116, v21, v13
	v_dual_sub_f32 v123, v128, v133 :: v_dual_sub_f32 v110, v143, v147
	v_dual_sub_f32 v97, v130, v125 :: v_dual_add_f32 v100, v100, v14
	v_dual_sub_f32 v53, v146, v150 :: v_dual_add_f32 v134, v89, v145
	v_sub_f32_e32 v119, v145, v141
	v_dual_sub_f32 v111, v142, v146 :: v_dual_add_f32 v114, v112, v115
	v_add_f32_e32 v103, v103, v117
	v_add_f32_e32 v23, v146, v150
	v_sub_f32_e32 v121, v146, v142
	v_add_f32_e32 v115, v52, v12
	v_dual_sub_f32 v112, v144, v148 :: v_dual_add_f32 v79, v145, v149
	v_dual_add_f32 v145, v90, v146 :: v_dual_add_f32 v146, v91, v147
	v_add_f32_e32 v125, v108, v125
	v_sub_f32_e32 v21, v147, v151
	v_dual_add_f32 v147, v118, v148 :: v_dual_sub_f32 v118, v131, v126
	v_add_f32_e32 v117, v107, v15
	ds_load_2addr_b64 v[12:15], v66 offset0:92 offset1:173
	v_add_f32_e32 v153, v148, v152
	v_dual_sub_f32 v52, v148, v144 :: v_dual_add_f32 v127, v102, v127
	v_dual_add_f32 v102, v100, v18 :: v_dual_add_f32 v139, v139, v140
	v_dual_add_f32 v96, v96, v106 :: v_dual_sub_f32 v129, v126, v131
	v_add_f32_e32 v126, v114, v126
	v_add_f32_e32 v128, v103, v128
	v_dual_add_f32 v108, v116, v17 :: v_dual_add_f32 v103, v117, v19
	v_add_f32_e32 v138, v50, v138
	s_delay_alu instid0(VALU_DEP_3)
	v_dual_add_f32 v117, v128, v133 :: v_dual_add_nc_u32 v50, 0xa2, v40
	v_fma_f32 v109, -0.5, v109, v3
	v_dual_fmac_f32 v3, -0.5, v113 :: v_dual_sub_f32 v20, v148, v152
	v_add_f32_e32 v124, v48, v124
	v_add_f32_e32 v92, v92, v97
	s_wait_dscnt 0x0
	v_dual_add_f32 v90, v142, v13 :: v_dual_add_f32 v107, v115, v16
	v_dual_sub_f32 v136, v150, v13 :: v_dual_add_f32 v91, v143, v14
	v_sub_f32_e32 v16, v143, v14
	v_mul_u32_u24_e32 v143, 10, v40
	v_add_f32_e32 v89, v141, v12
	v_dual_sub_f32 v18, v141, v12 :: v_dual_sub_f32 v17, v144, v15
	v_sub_f32_e32 v19, v142, v13
	s_delay_alu instid0(VALU_DEP_4) | instskip(SKIP_4) | instid1(VALU_DEP_4)
	v_lshl_add_u32 v140, v143, 3, 0
	v_sub_f32_e32 v141, v152, v15
	v_add_f32_e32 v142, v144, v15
	v_add_f32_e32 v115, v126, v131
	v_dual_sub_f32 v135, v149, v12 :: v_dual_add_f32 v144, v47, v49
	v_dual_add_f32 v141, v52, v141 :: v_dual_add_nc_u32 v106, 0x1950, v140
	v_add_nc_u32_e32 v52, 0x51, v40
	v_add_f32_e32 v126, v145, v150
	v_add_f32_e32 v116, v127, v132
	v_sub_f32_e32 v132, v12, v149
	v_add_f32_e32 v128, v147, v152
	v_dual_add_f32 v114, v125, v130 :: v_dual_add_f32 v125, v134, v149
	v_dual_sub_f32 v134, v151, v14 :: v_dual_add_f32 v143, v46, v76
	v_add_f32_e32 v94, v83, v94
	v_and_b32_e32 v76, 0xff, v52
	v_sub_f32_e32 v130, v15, v152
	v_dual_add_f32 v137, v67, v137 :: v_dual_add_f32 v104, v104, v132
	v_add_nc_u32_e32 v67, 0x195, v40
	s_delay_alu instid0(VALU_DEP_3)
	v_dual_add_f32 v113, v119, v135 :: v_dual_add_f32 v112, v112, v130
	v_fma_f32 v135, -0.5, v98, v5
	v_dual_add_f32 v98, v99, v129 :: v_dual_add_f32 v99, v122, v134
	v_mul_lo_u16 v122, 0xcd, v76
	v_sub_f32_e32 v133, v13, v150
	v_add_f32_e32 v127, v146, v151
	v_fma_f32 v100, -0.5, v153, v11
	v_dual_fmac_f32 v11, -0.5, v142 :: v_dual_and_b32 v46, 0xffff, v67
	v_add_f32_e32 v142, v68, v70
	v_dual_sub_f32 v131, v14, v151 :: v_dual_add_nc_u32 v68, 0xf3, v40
	v_add_nc_u32_e32 v70, 0x144, v40
	v_dual_add_f32 v134, v78, v85 :: v_dual_and_b32 v49, 0xff, v50
	v_lshrrev_b16 v78, 11, v122
	v_fma_f32 v122, -0.5, v72, v0
	v_and_b32_e32 v48, 0xffff, v68
	v_and_b32_e32 v47, 0xffff, v70
	v_add_nc_u32_e32 v119, 0x1960, v140
	v_dual_fmac_f32 v5, -0.5, v105 :: v_dual_add_f32 v72, v125, v12
	v_add_f32_e32 v110, v110, v131
	v_fma_f32 v77, -0.5, v77, v1
	v_fma_f32 v74, -0.5, v74, v1
	v_add_f32_e32 v97, v87, v120
	v_fma_f32 v120, -0.5, v73, v0
	v_fma_f32 v131, -0.5, v80, v6
	v_dual_add_f32 v80, v127, v14 :: v_dual_fmamk_f32 v125, v36, 0xbf737871, v122
	v_fmac_f32_e32 v122, 0x3f737871, v36
	v_add_f32_e32 v121, v121, v136
	v_add_f32_e32 v95, v86, v95
	v_dual_add_f32 v111, v111, v133 :: v_dual_add_f32 v12, v102, v72
	v_mul_lo_u16 v86, v78, 10
	v_fma_f32 v130, -0.5, v81, v6
	v_fma_f32 v146, -0.5, v84, v7
	v_dual_fmamk_f32 v147, v29, 0x3f737871, v120 :: v_dual_sub_f32 v6, v107, v116
	v_fmac_f32_e32 v120, 0xbf737871, v29
	v_add_f32_e32 v73, v126, v13
	v_dual_add_f32 v81, v128, v15 :: v_dual_sub_f32 v14, v102, v72
	v_fmamk_f32 v126, v28, 0xbf737871, v77
	v_fmac_f32_e32 v77, 0x3f737871, v28
	v_dual_add_f32 v72, v114, v80 :: v_dual_fmac_f32 v125, 0xbf167918, v29
	v_fmac_f32_e32 v122, 0x3f167918, v29
	v_fma_f32 v29, -0.5, v79, v8
	v_fma_f32 v79, -0.5, v35, v2
	v_mul_u32_u24_e32 v85, 0xcccd, v48
	v_sub_nc_u16 v86, v52, v86
	v_fma_f32 v82, -0.5, v82, v7
	v_dual_sub_f32 v7, v108, v117 :: v_dual_fmac_f32 v120, 0x3f167918, v36
	v_fmamk_f32 v102, v37, 0x3f737871, v74
	v_fmac_f32_e32 v74, 0xbf737871, v37
	v_fmac_f32_e32 v147, 0xbf167918, v36
	v_fmamk_f32 v36, v51, 0xbf737871, v131
	v_fmac_f32_e32 v126, 0x3f167918, v37
	v_fma_f32 v2, -0.5, v39, v2
	v_fmamk_f32 v39, v31, 0xbf737871, v79
	v_dual_fmac_f32 v77, 0xbf167918, v37 :: v_dual_fmac_f32 v74, 0xbf167918, v28
	v_fmamk_f32 v37, v38, 0xbf737871, v146
	v_dual_fmac_f32 v146, 0x3f737871, v38 :: v_dual_add_f32 v101, v101, v123
	v_dual_add_f32 v13, v103, v73 :: v_dual_add_nc_u32 v132, 0x32c0, v140
	v_sub_f32_e32 v15, v103, v73
	s_delay_alu instid0(VALU_DEP_3)
	v_dual_add_f32 v73, v115, v81 :: v_dual_fmac_f32 v146, 0xbf167918, v75
	v_lshrrev_b32_e32 v84, 19, v85
	v_fmac_f32_e32 v125, 0x3e9e377a, v138
	v_and_b32_e32 v85, 0xff, v86
	v_fmamk_f32 v103, v30, 0x3f737871, v130
	v_dual_fmac_f32 v130, 0xbf737871, v30 :: v_dual_add_f32 v1, v108, v117
	v_sub_f32_e32 v80, v114, v80
	s_delay_alu instid0(VALU_DEP_4)
	v_lshlrev_b32_e32 v114, 4, v85
	v_fma_f32 v8, -0.5, v89, v8
	v_fmac_f32_e32 v131, 0x3f737871, v51
	v_fmac_f32_e32 v130, 0x3f167918, v51
	v_fma_f32 v69, -0.5, v69, v4
	v_fma_f32 v71, -0.5, v71, v4
	v_fmac_f32_e32 v146, 0x3e9e377a, v101
	v_fmamk_f32 v4, v19, 0xbf737871, v29
	v_fmac_f32_e32 v103, 0xbf167918, v51
	v_fmamk_f32 v51, v75, 0x3f737871, v82
	v_fmac_f32_e32 v82, 0xbf737871, v75
	v_fma_f32 v23, -0.5, v23, v9
	v_fma_f32 v9, -0.5, v90, v9
	s_delay_alu instid0(VALU_DEP_4)
	v_dual_fmac_f32 v102, 0x3f167918, v28 :: v_dual_fmac_f32 v51, 0x3f167918, v38
	v_fmamk_f32 v89, v32, 0xbf737871, v3
	v_fmamk_f32 v28, v53, 0x3f737871, v8
	v_fmac_f32_e32 v8, 0xbf737871, v53
	v_dual_sub_f32 v81, v115, v81 :: v_dual_fmac_f32 v82, 0xbf167918, v38
	v_fma_f32 v38, -0.5, v88, v10
	v_fma_f32 v10, -0.5, v91, v10
	v_fmac_f32_e32 v29, 0x3f737871, v19
	v_fmac_f32_e32 v8, 0x3f167918, v19
	;; [unrolled: 1-line block ×3, first 2 shown]
	v_fmamk_f32 v19, v22, 0xbf737871, v9
	v_fmac_f32_e32 v102, 0x3e9e377a, v139
	v_fmac_f32_e32 v9, 0x3f737871, v22
	;; [unrolled: 1-line block ×5, first 2 shown]
	v_fmamk_f32 v30, v18, 0x3f737871, v23
	v_fmac_f32_e32 v23, 0xbf737871, v18
	v_fmac_f32_e32 v19, 0x3f167918, v18
	v_dual_fmac_f32 v103, 0x3e9e377a, v144 :: v_dual_fmac_f32 v122, 0x3e9e377a, v138
	v_fmac_f32_e32 v9, 0xbf167918, v18
	v_fmamk_f32 v18, v17, 0xbf737871, v38
	v_fmac_f32_e32 v39, 0xbf167918, v34
	v_fmamk_f32 v88, v33, 0x3f737871, v109
	v_fmac_f32_e32 v19, 0x3e9e377a, v121
	v_fmamk_f32 v117, v24, 0xbf737871, v5
	v_fmac_f32_e32 v18, 0xbf167918, v20
	v_dual_fmac_f32 v74, 0x3e9e377a, v139 :: v_dual_fmac_f32 v39, 0x3e9e377a, v134
	v_fmac_f32_e32 v5, 0x3f737871, v24
	v_mul_lo_u16 v83, 0xcd, v49
	v_dual_fmac_f32 v79, 0x3f737871, v31 :: v_dual_fmac_f32 v38, 0x3f737871, v17
	v_dual_fmac_f32 v88, 0x3f167918, v32 :: v_dual_fmac_f32 v89, 0x3f167918, v33
	v_fmac_f32_e32 v23, 0xbf167918, v22
	v_fmac_f32_e32 v5, 0xbf167918, v26
	;; [unrolled: 1-line block ×3, first 2 shown]
	v_dual_fmac_f32 v9, 0x3e9e377a, v121 :: v_dual_fmac_f32 v18, 0x3e9e377a, v110
	v_mul_f32_e32 v90, 0xbf737871, v19
	v_lshrrev_b16 v83, 11, v83
	v_dual_add_f32 v93, v93, v118 :: v_dual_add_f32 v0, v107, v116
	v_fmac_f32_e32 v3, 0x3f737871, v32
	v_fmac_f32_e32 v30, 0x3f167918, v22
	v_dual_fmac_f32 v117, 0x3f167918, v26 :: v_dual_fmac_f32 v38, 0x3f167918, v20
	v_fmamk_f32 v22, v20, 0x3f737871, v10
	v_fmac_f32_e32 v10, 0xbf737871, v20
	v_fmamk_f32 v20, v16, 0x3f737871, v100
	v_dual_fmac_f32 v89, 0x3e9e377a, v96 :: v_dual_fmac_f32 v8, 0x3e9e377a, v113
	v_dual_fmac_f32 v5, 0x3e9e377a, v98 :: v_dual_fmac_f32 v90, 0x3e9e377a, v28
	v_fmamk_f32 v116, v26, 0x3f737871, v135
	v_fmac_f32_e32 v29, 0x3f167918, v53
	v_dual_fmamk_f32 v53, v27, 0xbf737871, v69 :: v_dual_fmac_f32 v100, 0xbf737871, v16
	v_mul_f32_e32 v35, 0xbf737871, v9
	v_mul_lo_u16 v118, v83, 10
	v_fmac_f32_e32 v10, 0x3f167918, v17
	v_dual_fmac_f32 v77, 0x3e9e377a, v137 :: v_dual_fmac_f32 v130, 0x3e9e377a, v144
	v_fmac_f32_e32 v69, 0x3f737871, v27
	v_fmac_f32_e32 v36, 0x3e9e377a, v143
	;; [unrolled: 1-line block ×5, first 2 shown]
	v_sub_nc_u16 v75, v50, v118
	v_fmac_f32_e32 v69, 0x3f167918, v25
	v_fmac_f32_e32 v51, 0x3e9e377a, v124
	v_dual_fmac_f32 v53, 0x3e9e377a, v92 :: v_dual_fmac_f32 v10, 0x3e9e377a, v99
	v_fmamk_f32 v115, v25, 0x3f737871, v71
	v_fmac_f32_e32 v71, 0xbf737871, v25
	v_mul_f32_e32 v25, 0x3f167918, v36
	v_fmac_f32_e32 v109, 0xbf737871, v33
	v_fmac_f32_e32 v22, 0xbf167918, v17
	v_fmamk_f32 v17, v21, 0xbf737871, v11
	v_fmac_f32_e32 v11, 0x3f737871, v21
	v_fmac_f32_e32 v25, 0x3f4f1bbd, v51
	v_and_b32_e32 v86, 0xff, v75
	v_fmamk_f32 v75, v34, 0x3f737871, v2
	v_fmac_f32_e32 v2, 0xbf737871, v34
	v_fmac_f32_e32 v79, 0x3f167918, v34
	v_fmac_f32_e32 v109, 0xbf167918, v32
	v_add_nc_u32_e32 v136, 0x32a0, v140
	s_delay_alu instid0(VALU_DEP_4) | instskip(NEXT) | instid1(VALU_DEP_4)
	v_dual_fmac_f32 v17, 0x3f167918, v16 :: v_dual_fmac_f32 v2, 0x3f167918, v31
	v_fmac_f32_e32 v79, 0x3e9e377a, v134
	v_fmac_f32_e32 v11, 0xbf167918, v16
	v_dual_fmac_f32 v120, 0x3e9e377a, v142 :: v_dual_fmac_f32 v69, 0x3e9e377a, v92
	s_delay_alu instid0(VALU_DEP_4) | instskip(NEXT) | instid1(VALU_DEP_3)
	v_dual_fmac_f32 v22, 0x3e9e377a, v99 :: v_dual_fmac_f32 v17, 0x3e9e377a, v141
	v_fmac_f32_e32 v11, 0x3e9e377a, v141
	v_dual_fmac_f32 v37, 0x3e9e377a, v101 :: v_dual_fmac_f32 v82, 0x3e9e377a, v124
	v_fmac_f32_e32 v135, 0xbf737871, v26
	v_fmac_f32_e32 v3, 0xbf167918, v33
	s_delay_alu instid0(VALU_DEP_4) | instskip(SKIP_3) | instid1(VALU_DEP_4)
	v_mul_f32_e32 v92, 0xbf737871, v11
	v_dual_mul_f32 v16, 0xbe9e377a, v11 :: v_dual_mul_f32 v11, 0xbe9e377a, v9
	v_mul_f32_e32 v26, 0xbf737871, v37
	v_fmac_f32_e32 v135, 0xbf167918, v24
	v_fmac_f32_e32 v92, 0xbe9e377a, v10
	v_fmac_f32_e32 v117, 0x3e9e377a, v98
	v_mul_f32_e32 v98, 0xbf737871, v17
	v_fmac_f32_e32 v16, 0x3f737871, v10
	v_dual_fmac_f32 v109, 0x3e9e377a, v95 :: v_dual_fmac_f32 v4, 0x3e9e377a, v104
	v_fmac_f32_e32 v30, 0x3e9e377a, v111
	s_delay_alu instid0(VALU_DEP_4) | instskip(NEXT) | instid1(VALU_DEP_4)
	v_dual_fmac_f32 v98, 0x3e9e377a, v22 :: v_dual_mul_f32 v99, 0x3e9e377a, v17
	v_add_f32_e32 v17, v5, v16
	v_fmac_f32_e32 v116, 0x3f167918, v24
	v_mul_f32_e32 v24, 0xbf167918, v51
	v_fmac_f32_e32 v3, 0x3e9e377a, v96
	v_fmac_f32_e32 v115, 0xbf167918, v27
	v_dual_fmac_f32 v71, 0x3f167918, v27 :: v_dual_fmac_f32 v20, 0x3f167918, v21
	s_delay_alu instid0(VALU_DEP_4)
	v_fmac_f32_e32 v24, 0x3f4f1bbd, v36
	v_dual_fmac_f32 v147, 0x3e9e377a, v142 :: v_dual_fmac_f32 v126, 0x3e9e377a, v137
	v_dual_fmac_f32 v131, 0x3e9e377a, v143 :: v_dual_fmac_f32 v2, 0x3e9e377a, v94
	v_mul_f32_e32 v27, 0x3e9e377a, v37
	v_mul_f32_e32 v33, 0xbf167918, v82
	;; [unrolled: 1-line block ×5, first 2 shown]
	v_add_f32_e32 v10, v125, v24
	v_fmac_f32_e32 v11, 0x3f737871, v8
	v_add_nc_u32_e32 v123, 0x1970, v140
	v_fmac_f32_e32 v100, 0xbf167918, v21
	v_dual_fmac_f32 v37, 0x3f4f1bbd, v4 :: v_dual_fmac_f32 v82, 0x3f4f1bbd, v30
	s_delay_alu instid0(VALU_DEP_4)
	v_add_f32_e32 v4, v3, v11
	v_sub_f32_e32 v9, v3, v11
	v_dual_add_f32 v11, v102, v25 :: v_dual_lshlrev_b32 v118, 4, v86
	v_fmac_f32_e32 v75, 0xbf167918, v31
	v_dual_fmac_f32 v71, 0x3e9e377a, v97 :: v_dual_fmac_f32 v100, 0x3e9e377a, v112
	v_dual_fmac_f32 v29, 0x3e9e377a, v104 :: v_dual_fmac_f32 v116, 0x3e9e377a, v93
	s_delay_alu instid0(VALU_DEP_3)
	v_dual_fmac_f32 v75, 0x3e9e377a, v94 :: v_dual_fmac_f32 v88, 0x3e9e377a, v95
	v_fmac_f32_e32 v38, 0x3e9e377a, v110
	v_mul_f32_e32 v31, 0xbf737871, v146
	v_mul_f32_e32 v32, 0xbe9e377a, v146
	;; [unrolled: 1-line block ×4, first 2 shown]
	v_fmac_f32_e32 v23, 0x3e9e377a, v111
	v_mul_f32_e32 v110, 0xbf4f1bbd, v100
	v_fmac_f32_e32 v31, 0xbe9e377a, v130
	v_fmac_f32_e32 v33, 0xbf4f1bbd, v131
	;; [unrolled: 1-line block ×4, first 2 shown]
	v_dual_fmac_f32 v110, 0x3f167918, v38 :: v_dual_sub_f32 v19, v5, v16
	v_fmac_f32_e32 v32, 0x3f737871, v130
	v_fmac_f32_e32 v34, 0x3f167918, v131
	v_dual_add_f32 v38, v75, v90 :: v_dual_fmac_f32 v135, 0x3e9e377a, v93
	v_fmac_f32_e32 v26, 0x3e9e377a, v103
	v_mul_f32_e32 v93, 0xbf167918, v23
	v_mul_f32_e32 v94, 0xbf4f1bbd, v23
	v_add_nc_u32_e32 v129, 0x1990, v140
	v_dual_sub_f32 v28, v120, v31 :: v_dual_add_nc_u32 v133, 0x32d0, v140
	v_dual_add_f32 v30, v122, v33 :: v_dual_add_nc_u32 v107, 0x32e0, v140
	v_fmac_f32_e32 v20, 0x3e9e377a, v112
	v_dual_fmac_f32 v99, 0x3f737871, v22 :: v_dual_sub_f32 v22, v125, v24
	v_dual_sub_f32 v23, v102, v25 :: v_dual_add_f32 v24, v120, v31
	v_add_f32_e32 v25, v77, v32
	v_dual_sub_f32 v102, v69, v104 :: v_dual_fmac_f32 v93, 0xbf4f1bbd, v29
	v_dual_fmac_f32 v94, 0x3f167918, v29 :: v_dual_sub_f32 v29, v77, v32
	v_add_f32_e32 v31, v74, v34
	v_sub_f32_e32 v32, v122, v33
	v_dual_sub_f32 v33, v74, v34 :: v_dual_add_f32 v34, v39, v37
	v_fmac_f32_e32 v115, 0x3e9e377a, v97
	v_mul_f32_e32 v95, 0xbf167918, v20
	v_mul_u32_u24_e32 v87, 0xcccd, v47
	v_mul_f32_e32 v96, 0x3f167918, v18
	v_add_f32_e32 v16, v71, v92
	v_mul_lo_u16 v108, v84, 10
	v_dual_fmac_f32 v95, 0x3f4f1bbd, v18 :: v_dual_sub_f32 v18, v71, v92
	v_lshrrev_b32_e32 v87, 19, v87
	v_dual_fmac_f32 v96, 0x3f4f1bbd, v20 :: v_dual_add_f32 v3, v2, v35
	s_delay_alu instid0(VALU_DEP_3) | instskip(SKIP_3) | instid1(VALU_DEP_3)
	v_add_f32_e32 v92, v53, v95
	v_fmac_f32_e32 v27, 0x3f737871, v103
	v_dual_add_f32 v20, v147, v26 :: v_dual_add_nc_u32 v105, 0x1980, v140
	v_dual_sub_f32 v26, v147, v26 :: v_dual_add_nc_u32 v145, 0x32b0, v140
	v_add_f32_e32 v21, v126, v27
	v_sub_f32_e32 v27, v126, v27
	v_sub_f32_e32 v8, v2, v35
	global_wb scope:SCOPE_SE
	s_barrier_signal -1
	s_barrier_wait -1
	global_inv scope:SCOPE_SE
	v_dual_sub_f32 v36, v39, v37 :: v_dual_sub_f32 v37, v88, v82
	v_dual_add_f32 v39, v89, v91 :: v_dual_sub_f32 v74, v75, v90
	v_sub_f32_e32 v75, v89, v91
	v_dual_add_f32 v89, v109, v94 :: v_dual_sub_f32 v90, v79, v93
	v_sub_f32_e32 v91, v109, v94
	v_dual_sub_f32 v94, v53, v95 :: v_dual_sub_f32 v95, v116, v96
	v_dual_add_f32 v97, v117, v99 :: v_dual_and_b32 v78, 0xffff, v78
	v_sub_f32_e32 v99, v117, v99
	v_dual_add_f32 v100, v69, v104 :: v_dual_add_f32 v101, v135, v110
	v_sub_f32_e32 v103, v135, v110
	v_add_nc_u32_e32 v71, 0x2d9, v40
	v_dual_add_f32 v35, v88, v82 :: v_dual_add_f32 v88, v79, v93
	v_dual_add_f32 v93, v116, v96 :: v_dual_add_f32 v96, v115, v98
	v_sub_f32_e32 v98, v115, v98
	ds_store_2addr_b64 v140, v[0:1], v[10:11] offset1:1
	ds_store_2addr_b64 v140, v[20:21], v[24:25] offset0:2 offset1:3
	ds_store_2addr_b64 v140, v[30:31], v[6:7] offset0:4 offset1:5
	ds_store_2addr_b64 v140, v[22:23], v[26:27] offset0:6 offset1:7
	ds_store_2addr_b64 v140, v[28:29], v[32:33] offset0:8 offset1:9
	ds_store_2addr_b64 v106, v[12:13], v[34:35] offset1:1
	ds_store_2addr_b64 v119, v[38:39], v[3:4] offset1:1
	;; [unrolled: 1-line block ×10, first 2 shown]
	v_mul_u32_u24_e32 v8, 0xcccd, v46
	v_mul_lo_u16 v9, v87, 10
	v_sub_nc_u16 v10, v68, v108
	global_wb scope:SCOPE_SE
	s_wait_dscnt 0x0
	s_barrier_signal -1
	s_barrier_wait -1
	global_inv scope:SCOPE_SE
	v_and_b32_e32 v88, 0xffff, v10
	global_load_b128 v[0:3], v114, s[8:9]
	v_add_nc_u32_e32 v73, 0x1e6, v40
	v_lshrrev_b32_e32 v90, 19, v8
	v_sub_nc_u16 v8, v70, v9
	v_add_nc_u32_e32 v72, 0x237, v40
	global_load_b128 v[4:7], v118, s[8:9]
	v_and_b32_e32 v51, 0xffff, v73
	v_mul_lo_u16 v9, v90, 10
	v_and_b32_e32 v89, 0xffff, v8
	v_lshlrev_b32_e32 v8, 4, v88
	v_and_b32_e32 v74, 0xffff, v71
	v_mul_u32_u24_e32 v12, 0xcccd, v51
	v_sub_nc_u16 v16, v67, v9
	v_mul_lo_u16 v80, 0x89, v49
	global_load_b128 v[8:11], v8, s[8:9]
	v_lshlrev_b32_e32 v13, 4, v89
	v_lshrrev_b32_e32 v91, 19, v12
	v_and_b32_e32 v92, 0xffff, v16
	v_mul_u32_u24_e32 v81, 0x8889, v48
	v_mul_u32_u24_e32 v82, 0x8889, v47
	global_load_b128 v[12:15], v13, s[8:9]
	v_and_b32_e32 v53, 0xffff, v72
	v_add_nc_u32_e32 v69, 0x288, v40
	v_mul_lo_u16 v17, v91, 10
	v_lshlrev_b32_e32 v18, 4, v92
	v_and_b32_e32 v77, 0xff, v40
	v_mul_u32_u24_e32 v16, 0xcccd, v53
	v_and_b32_e32 v75, 0xffff, v69
	v_mul_u32_u24_e32 v103, 0x8889, v46
	global_load_b128 v[32:35], v18, s[8:9]
	v_mul_lo_u16 v19, 0xcd, v77
	v_lshrrev_b32_e32 v97, 19, v16
	v_sub_nc_u16 v16, v73, v17
	v_mul_u32_u24_e32 v17, 0xcccd, v75
	v_mul_u32_u24_e32 v105, 0xf0, v87
	v_lshrrev_b16 v79, 11, v19
	v_mul_u32_u24_e32 v19, 0xcccd, v74
	v_and_b32_e32 v93, 0xffff, v16
	v_lshrrev_b32_e32 v98, 19, v17
	v_mul_u32_u24_e32 v106, 0xf0, v90
	v_mul_lo_u16 v20, v79, 10
	v_lshrrev_b32_e32 v101, 19, v19
	v_lshlrev_b32_e32 v17, 4, v93
	v_and_b32_e32 v104, 0xffff, v79
	v_lshrrev_b16 v79, 12, v80
	v_lshrrev_b32_e32 v80, 20, v81
	v_lshrrev_b32_e32 v81, 20, v82
	global_load_b128 v[36:39], v17, s[8:9]
	v_mul_lo_u16 v18, v97, 10
	v_sub_nc_u16 v17, v40, v20
	v_lshrrev_b32_e32 v82, 20, v103
	v_mul_u32_u24_e32 v103, 0xf0, v104
	v_mul_u32_u24_e32 v104, 0xf0, v84
	v_sub_nc_u16 v16, v72, v18
	v_mul_lo_u16 v18, v98, 10
	v_and_b32_e32 v102, 0xff, v17
	v_mul_lo_u16 v84, v79, 30
	v_mul_lo_u16 v87, v80, 30
	v_and_b32_e32 v96, 0xffff, v16
	v_sub_nc_u16 v16, v69, v18
	v_lshlrev_b32_e32 v90, 3, v102
	v_sub_nc_u16 v84, v50, v84
	v_sub_nc_u16 v87, v68, v87
	v_lshlrev_b32_e32 v18, 4, v96
	v_mul_u32_u24_e32 v78, 0xf0, v78
	v_add3_u32 v127, 0, v103, v90
	v_lshlrev_b32_e32 v90, 3, v85
	v_mul_u32_u24_e32 v107, 0xf0, v91
	global_load_b128 v[28:31], v18, s[8:9]
	v_and_b32_e32 v99, 0xffff, v16
	v_mul_lo_u16 v16, v101, 10
	v_lshlrev_b32_e32 v103, 3, v86
	v_lshlrev_b32_e32 v108, 3, v88
	;; [unrolled: 1-line block ×4, first 2 shown]
	v_sub_nc_u16 v16, v71, v16
	v_add3_u32 v78, 0, v78, v90
	v_mul_u32_u24_e32 v97, 0xf0, v97
	v_mul_u32_u24_e32 v98, 0xf0, v98
	global_load_b128 v[24:27], v17, s[8:9]
	v_and_b32_e32 v100, 0xffff, v16
	v_lshlrev_b32_e32 v18, 4, v102
	v_and_b32_e32 v83, 0xffff, v83
	v_mul_u32_u24_e32 v101, 0xf0, v101
	v_lshlrev_b32_e32 v93, 3, v93
	v_lshlrev_b32_e32 v16, 4, v100
	global_load_b128 v[20:23], v18, s[8:9]
	v_mul_u32_u24_e32 v102, 0xf0, v83
	v_and_b32_e32 v83, 0xff, v84
	v_and_b32_e32 v84, 0xffff, v87
	global_load_b128 v[16:19], v16, s[8:9]
	ds_load_2addr_b64 v[85:88], v63 offset0:123 offset1:204
	v_lshlrev_b32_e32 v110, 3, v92
	ds_load_2addr_b64 v[89:92], v61 offset0:165 offset1:246
	v_lshlrev_b32_e32 v96, 3, v96
	v_lshlrev_b32_e32 v99, 3, v99
	;; [unrolled: 1-line block ×3, first 2 shown]
	v_add_nc_u32_e32 v94, 0x2400, v54
	v_add_nc_u32_e32 v95, 0x3c00, v54
	v_add3_u32 v130, 0, v102, v103
	v_add3_u32 v131, 0, v104, v108
	;; [unrolled: 1-line block ×7, first 2 shown]
	v_mul_lo_u16 v126, v81, 30
	v_mul_lo_u16 v49, 0xb7, v49
	v_mul_u32_u24_e32 v48, 0x2d83, v48
	v_mul_u32_u24_e32 v46, 0x2d83, v46
	v_mul_u32_u24_e32 v47, 0x2d83, v47
	s_wait_loadcnt_dscnt 0x900
	v_mul_f32_e32 v138, v90, v3
	v_mul_f32_e32 v3, v89, v3
	v_add3_u32 v137, 0, v101, v100
	ds_load_2addr_b64 v[96:99], v59 offset0:29 offset1:110
	ds_load_2addr_b64 v[100:103], v57 offset0:71 offset1:152
	;; [unrolled: 1-line block ×6, first 2 shown]
	ds_load_2addr_b32 v[93:94], v63 offset0:84 offset1:85
	ds_load_2addr_b64 v[120:123], v61 offset0:3 offset1:84
	ds_load_b64 v[124:125], v54 offset:18792
	v_mul_f32_e32 v95, v86, v1
	v_mul_f32_e32 v1, v85, v1
	s_wait_loadcnt 0x8
	v_dual_fmac_f32 v138, v89, v2 :: v_dual_mul_f32 v89, v92, v7
	s_delay_alu instid0(VALU_DEP_1)
	v_fmac_f32_e32 v89, v91, v6
	v_fmac_f32_e32 v95, v85, v0
	v_fma_f32 v85, v86, v0, -v1
	v_fma_f32 v86, v90, v2, -v3
	s_wait_loadcnt_dscnt 0x708
	v_mul_f32_e32 v90, v97, v9
	v_mul_f32_e32 v9, v96, v9
	ds_load_2addr_b64 v[0:3], v54 offset1:81
	v_fmac_f32_e32 v90, v96, v8
	v_fma_f32 v96, v97, v8, -v9
	v_mul_f32_e32 v7, v91, v7
	s_wait_dscnt 0x8
	v_mul_f32_e32 v91, v101, v11
	v_mul_f32_e32 v11, v100, v11
	;; [unrolled: 1-line block ×3, first 2 shown]
	s_delay_alu instid0(VALU_DEP_3) | instskip(NEXT) | instid1(VALU_DEP_3)
	v_fmac_f32_e32 v91, v100, v10
	v_fma_f32 v97, v101, v10, -v11
	ds_load_2addr_b64 v[8:11], v64 offset0:68 offset1:149
	v_mul_f32_e32 v5, v87, v5
	v_fmac_f32_e32 v139, v87, v4
	s_wait_loadcnt 0x6
	v_mul_f32_e32 v100, v103, v15
	v_mul_f32_e32 v15, v102, v15
	v_fma_f32 v87, v88, v4, -v5
	v_fma_f32 v88, v92, v6, -v7
	v_mul_f32_e32 v92, v99, v13
	v_mul_f32_e32 v13, v98, v13
	v_fmac_f32_e32 v100, v102, v14
	v_fma_f32 v101, v103, v14, -v15
	s_wait_loadcnt_dscnt 0x507
	v_mul_f32_e32 v102, v109, v35
	v_fmac_f32_e32 v92, v98, v12
	v_fma_f32 v98, v99, v12, -v13
	v_mul_f32_e32 v99, v105, v33
	ds_load_2addr_b64 v[12:15], v55 offset0:102 offset1:183
	v_mul_f32_e32 v33, v104, v33
	v_mul_f32_e32 v35, v108, v35
	v_fmac_f32_e32 v102, v108, v34
	ds_load_2addr_b64 v[4:7], v54 offset0:162 offset1:243
	v_lshlrev_b32_e32 v129, 4, v84
	v_fma_f32 v103, v105, v32, -v33
	s_wait_loadcnt 0x4
	v_mul_f32_e32 v105, v107, v37
	v_mul_f32_e32 v37, v106, v37
	s_wait_dscnt 0x2
	v_add_f32_e32 v141, v11, v103
	s_delay_alu instid0(VALU_DEP_3) | instskip(NEXT) | instid1(VALU_DEP_3)
	v_fmac_f32_e32 v105, v106, v36
	v_fma_f32 v36, v107, v36, -v37
	s_wait_loadcnt 0x3
	v_mul_f32_e32 v106, v113, v29
	s_delay_alu instid0(VALU_DEP_1)
	v_fmac_f32_e32 v106, v112, v28
	v_mul_f32_e32 v29, v112, v29
	s_wait_loadcnt 0x2
	v_mul_f32_e32 v107, v115, v25
	v_mul_f32_e32 v108, v119, v27
	;; [unrolled: 1-line block ×3, first 2 shown]
	v_fma_f32 v28, v113, v28, -v29
	s_delay_alu instid0(VALU_DEP_3) | instskip(NEXT) | instid1(VALU_DEP_3)
	v_fmac_f32_e32 v108, v118, v26
	v_fma_f32 v112, v119, v26, -v27
	v_dual_sub_f32 v118, v85, v86 :: v_dual_fmac_f32 v107, v114, v24
	v_dual_mul_f32 v25, v114, v25 :: v_dual_add_f32 v26, v8, v92
	v_mul_f32_e32 v37, v111, v39
	v_mul_f32_e32 v39, v110, v39
	s_wait_loadcnt 0x1
	v_mul_f32_e32 v29, v123, v23
	v_add_f32_e32 v27, v9, v98
	v_fmac_f32_e32 v37, v110, v38
	v_fma_f32 v38, v111, v38, -v39
	v_fma_f32 v110, v115, v24, -v25
	v_mul_f32_e32 v39, v117, v31
	s_wait_loadcnt 0x0
	v_mul_f32_e32 v111, v125, v19
	v_mul_f32_e32 v19, v124, v19
	v_fmac_f32_e32 v29, v122, v22
	v_dual_sub_f32 v146, v110, v112 :: v_dual_fmac_f32 v39, v116, v30
	v_fmac_f32_e32 v99, v104, v32
	v_fma_f32 v104, v109, v34, -v35
	v_mul_f32_e32 v109, v94, v21
	v_fmac_f32_e32 v111, v124, v18
	v_mul_f32_e32 v21, v21, v93
	v_sub_f32_e32 v119, v87, v88
	s_delay_alu instid0(VALU_DEP_4)
	v_dual_sub_f32 v140, v103, v104 :: v_dual_fmac_f32 v109, v20, v93
	v_add_f32_e32 v103, v103, v104
	ds_load_2addr_b64 v[32:35], v58 offset0:136 offset1:217
	v_mul_f32_e32 v31, v116, v31
	v_fma_f32 v20, v94, v20, -v21
	v_fma_f32 v94, v125, v18, -v19
	v_add_f32_e32 v113, v109, v29
	v_dual_add_f32 v18, v0, v109 :: v_dual_fmac_f32 v11, -0.5, v103
	v_sub_f32_e32 v109, v109, v29
	v_mul_f32_e32 v23, v122, v23
	v_fma_f32 v30, v117, v30, -v31
	v_sub_f32_e32 v124, v98, v101
	v_add_f32_e32 v98, v98, v101
	v_sub_f32_e32 v144, v36, v38
	v_fma_f32 v21, v123, v22, -v23
	v_add_f32_e32 v117, v85, v86
	v_add_f32_e32 v19, v3, v85
	;; [unrolled: 1-line block ×3, first 2 shown]
	v_sub_f32_e32 v125, v92, v100
	v_fma_f32 v0, -0.5, v113, v0
	v_fmac_f32_e32 v3, -0.5, v117
	v_fma_f32 v9, -0.5, v98, v9
	v_sub_f32_e32 v115, v20, v21
	v_mul_f32_e32 v31, v121, v17
	s_wait_dscnt 0x1
	v_dual_mul_f32 v17, v120, v17 :: v_dual_add_f32 v22, v5, v87
	v_add_f32_e32 v24, v6, v90
	v_fma_f32 v5, -0.5, v85, v5
	v_fmamk_f32 v85, v115, 0xbf5db3d7, v0
	s_delay_alu instid0(VALU_DEP_4)
	v_fma_f32 v93, v121, v16, -v17
	v_dual_fmac_f32 v0, 0x3f5db3d7, v115 :: v_dual_fmac_f32 v31, v120, v16
	v_add_f32_e32 v16, v1, v20
	v_add_f32_e32 v114, v20, v21
	v_dual_add_f32 v122, v96, v97 :: v_dual_add_f32 v25, v7, v96
	v_sub_f32_e32 v96, v96, v97
	s_delay_alu instid0(VALU_DEP_4)
	v_add_f32_e32 v17, v16, v21
	v_add_f32_e32 v16, v18, v29
	;; [unrolled: 1-line block ×3, first 2 shown]
	v_dual_sub_f32 v123, v90, v91 :: v_dual_add_f32 v90, v92, v100
	v_sub_f32_e32 v120, v139, v89
	v_add_f32_e32 v20, v2, v95
	v_dual_add_f32 v21, v22, v88 :: v_dual_add_f32 v22, v24, v91
	s_wait_dscnt 0x0
	v_dual_add_f32 v91, v33, v110 :: v_dual_add_f32 v24, v26, v100
	v_add_f32_e32 v100, v110, v112
	v_dual_sub_f32 v110, v93, v94 :: v_dual_add_f32 v23, v4, v139
	v_add_f32_e32 v116, v95, v138
	v_add_f32_e32 v87, v139, v89
	;; [unrolled: 1-line block ×5, first 2 shown]
	v_dual_add_f32 v20, v23, v89 :: v_dual_add_f32 v89, v28, v30
	v_fma_f32 v2, -0.5, v116, v2
	v_dual_add_f32 v92, v10, v99 :: v_dual_add_f32 v139, v99, v102
	v_dual_sub_f32 v99, v99, v102 :: v_dual_add_f32 v142, v12, v105
	v_add_f32_e32 v29, v13, v36
	v_add_f32_e32 v145, v36, v38
	;; [unrolled: 1-line block ×4, first 2 shown]
	v_fma_f32 v6, -0.5, v121, v6
	v_fma_f32 v14, -0.5, v86, v14
	v_fmac_f32_e32 v15, -0.5, v89
	v_sub_f32_e32 v95, v95, v138
	v_dual_sub_f32 v138, v28, v30 :: v_dual_add_f32 v23, v25, v97
	v_add_f32_e32 v25, v27, v101
	v_fma_f32 v4, -0.5, v87, v4
	v_fmamk_f32 v87, v118, 0xbf5db3d7, v2
	v_dual_fmac_f32 v2, 0x3f5db3d7, v118 :: v_dual_add_f32 v101, v107, v108
	v_add_f32_e32 v97, v32, v107
	v_dual_add_f32 v26, v92, v102 :: v_dual_add_f32 v27, v141, v104
	v_add_f32_e32 v92, v35, v93
	v_add_f32_e32 v143, v105, v37
	v_sub_f32_e32 v105, v105, v37
	v_fma_f32 v1, -0.5, v114, v1
	v_dual_sub_f32 v104, v107, v108 :: v_dual_add_f32 v107, v93, v94
	v_dual_add_f32 v28, v142, v37 :: v_dual_add_f32 v37, v91, v112
	v_fma_f32 v8, -0.5, v90, v8
	v_fmamk_f32 v91, v96, 0xbf5db3d7, v6
	v_fmac_f32_e32 v6, 0x3f5db3d7, v96
	v_fmamk_f32 v96, v99, 0x3f5db3d7, v11
	v_fmac_f32_e32 v11, 0xbf5db3d7, v99
	v_fmamk_f32 v99, v138, 0xbf5db3d7, v14
	v_dual_fmac_f32 v14, 0x3f5db3d7, v138 :: v_dual_add_f32 v93, v31, v111
	v_sub_f32_e32 v106, v106, v39
	v_fma_f32 v32, -0.5, v101, v32
	v_dual_add_f32 v102, v34, v31 :: v_dual_fmac_f32 v7, -0.5, v122
	v_fma_f32 v10, -0.5, v139, v10
	v_fma_f32 v12, -0.5, v143, v12
	;; [unrolled: 1-line block ×5, first 2 shown]
	v_fmac_f32_e32 v35, -0.5, v107
	v_fmamk_f32 v86, v109, 0x3f5db3d7, v1
	v_fmamk_f32 v93, v124, 0xbf5db3d7, v8
	v_dual_fmac_f32 v8, 0x3f5db3d7, v124 :: v_dual_sub_f32 v113, v31, v111
	v_fmac_f32_e32 v1, 0xbf5db3d7, v109
	v_dual_add_f32 v31, v88, v30 :: v_dual_fmamk_f32 v100, v106, 0x3f5db3d7, v15
	v_fmamk_f32 v88, v95, 0x3f5db3d7, v3
	v_fmac_f32_e32 v3, 0xbf5db3d7, v95
	v_add_f32_e32 v30, v36, v39
	v_add_f32_e32 v39, v92, v94
	v_fmamk_f32 v90, v120, 0x3f5db3d7, v5
	v_fmamk_f32 v94, v125, 0x3f5db3d7, v9
	v_fmac_f32_e32 v9, 0xbf5db3d7, v125
	v_fmamk_f32 v101, v146, 0xbf5db3d7, v32
	v_fmac_f32_e32 v32, 0x3f5db3d7, v146
	v_fmamk_f32 v89, v119, 0xbf5db3d7, v4
	global_wb scope:SCOPE_SE
	s_barrier_signal -1
	s_barrier_wait -1
	global_inv scope:SCOPE_SE
	v_add_f32_e32 v29, v29, v38
	v_add_f32_e32 v36, v97, v108
	;; [unrolled: 1-line block ×3, first 2 shown]
	v_fmac_f32_e32 v4, 0x3f5db3d7, v119
	v_fmac_f32_e32 v5, 0xbf5db3d7, v120
	v_fmamk_f32 v92, v123, 0x3f5db3d7, v7
	v_fmac_f32_e32 v7, 0xbf5db3d7, v123
	v_fmamk_f32 v95, v140, 0xbf5db3d7, v10
	;; [unrolled: 2-line block ×4, first 2 shown]
	v_fmac_f32_e32 v13, 0xbf5db3d7, v105
	v_fmac_f32_e32 v15, 0xbf5db3d7, v106
	v_fmamk_f32 v102, v104, 0x3f5db3d7, v33
	v_fmac_f32_e32 v33, 0xbf5db3d7, v104
	v_fmamk_f32 v103, v110, 0xbf5db3d7, v34
	;; [unrolled: 2-line block ×3, first 2 shown]
	v_fmac_f32_e32 v35, 0xbf5db3d7, v113
	ds_store_2addr_b64 v127, v[16:17], v[85:86] offset1:10
	ds_store_b64 v127, v[0:1] offset:160
	ds_store_2addr_b64 v78, v[18:19], v[87:88] offset1:10
	ds_store_b64 v78, v[2:3] offset:160
	;; [unrolled: 2-line block ×10, first 2 shown]
	v_sub_nc_u16 v9, v70, v126
	v_mul_u32_u24_e32 v12, 0x8889, v53
	v_mul_u32_u24_e32 v17, 0x8889, v75
	;; [unrolled: 1-line block ×3, first 2 shown]
	v_mul_lo_u16 v8, v82, 30
	v_and_b32_e32 v86, 0xffff, v9
	v_mul_u32_u24_e32 v9, 0x8889, v51
	v_lshrrev_b32_e32 v89, 20, v12
	v_lshrrev_b32_e32 v90, 20, v17
	v_mul_lo_u16 v17, 0x89, v76
	v_lshrrev_b32_e32 v94, 20, v20
	v_lshrrev_b32_e32 v88, 20, v9
	v_mul_lo_u16 v19, v89, 30
	v_lshlrev_b32_e32 v128, 4, v83
	v_sub_nc_u16 v8, v67, v8
	v_mul_lo_u16 v18, 0x89, v77
	v_mul_lo_u16 v16, v88, 30
	v_sub_nc_u16 v19, v72, v19
	v_lshrrev_b16 v96, 12, v17
	v_mul_lo_u16 v17, v94, 30
	global_wb scope:SCOPE_SE
	s_wait_dscnt 0x0
	v_sub_nc_u16 v16, v73, v16
	v_and_b32_e32 v92, 0xffff, v19
	s_barrier_signal -1
	s_barrier_wait -1
	global_inv scope:SCOPE_SE
	v_and_b32_e32 v91, 0xffff, v16
	v_mul_lo_u16 v16, v90, 30
	s_clause 0x1
	global_load_b128 v[4:7], v128, s[8:9] offset:160
	global_load_b128 v[0:3], v129, s[8:9] offset:160
	v_and_b32_e32 v87, 0xffff, v8
	v_lshrrev_b16 v76, 12, v18
	v_sub_nc_u16 v16, v69, v16
	v_lshlrev_b32_e32 v18, 4, v91
	v_lshlrev_b32_e32 v19, 4, v92
	;; [unrolled: 1-line block ×4, first 2 shown]
	v_and_b32_e32 v93, 0xffff, v16
	v_sub_nc_u16 v16, v71, v17
	s_clause 0x1
	global_load_b128 v[36:39], v18, s[8:9] offset:160
	global_load_b128 v[32:35], v19, s[8:9] offset:160
	v_mul_lo_u16 v18, v76, 30
	s_clause 0x1
	global_load_b128 v[8:11], v8, s[8:9] offset:160
	global_load_b128 v[12:15], v13, s[8:9] offset:160
	v_and_b32_e32 v95, 0xffff, v16
	v_lshlrev_b32_e32 v19, 4, v93
	v_sub_nc_u16 v16, v40, v18
	v_mul_lo_u16 v17, v96, 30
	v_and_b32_e32 v99, 0xffff, v76
	v_lshlrev_b32_e32 v18, 4, v95
	global_load_b128 v[24:27], v19, s[8:9] offset:160
	v_and_b32_e32 v98, 0xff, v16
	v_sub_nc_u16 v17, v52, v17
	v_lshrrev_b16 v76, 14, v49
	global_load_b128 v[28:31], v18, s[8:9] offset:160
	v_lshrrev_b32_e32 v77, 20, v48
	v_lshlrev_b32_e32 v16, 4, v98
	v_and_b32_e32 v97, 0xff, v17
	v_lshrrev_b32_e32 v85, 20, v46
	v_mul_u32_u24_e32 v46, 0x2d0, v99
	v_and_b32_e32 v48, 0xffff, v79
	v_mul_u32_u24_e32 v99, 0x2d0, v81
	v_lshlrev_b32_e32 v17, 4, v97
	s_clause 0x1
	global_load_b128 v[20:23], v16, s[8:9] offset:160
	global_load_b128 v[16:19], v17, s[8:9] offset:160
	v_lshlrev_b32_e32 v81, 3, v98
	v_lshrrev_b32_e32 v78, 20, v47
	v_and_b32_e32 v47, 0xffff, v96
	v_mul_u32_u24_e32 v100, 0x2d0, v82
	v_mul_lo_u16 v49, 0x5a, v76
	v_mul_u32_u24_e32 v82, 0x2d0, v48
	v_add3_u32 v123, 0, v46, v81
	v_lshlrev_b32_e32 v81, 3, v83
	v_mul_lo_u16 v79, 0x5a, v77
	v_sub_nc_u16 v49, v50, v49
	v_mul_u32_u24_e32 v47, 0x2d0, v47
	v_lshlrev_b32_e32 v46, 3, v97
	v_lshlrev_b32_e32 v97, 3, v84
	v_add3_u32 v127, 0, v82, v81
	ds_load_2addr_b64 v[81:84], v65 offset0:118 offset1:199
	v_mul_u32_u24_e32 v96, 0x2d0, v80
	v_sub_nc_u16 v80, v68, v79
	v_and_b32_e32 v79, 0xff, v49
	v_add3_u32 v126, 0, v47, v46
	ds_load_2addr_b64 v[46:49], v41 offset0:76 offset1:157
	v_mul_u32_u24_e32 v88, 0x2d0, v88
	v_mul_u32_u24_e32 v89, 0x2d0, v89
	;; [unrolled: 1-line block ×4, first 2 shown]
	v_lshlrev_b32_e32 v86, 3, v86
	v_lshlrev_b32_e32 v87, 3, v87
	v_lshlrev_b32_e32 v91, 3, v91
	v_lshlrev_b32_e32 v92, 3, v92
	v_lshlrev_b32_e32 v93, 3, v93
	v_lshlrev_b32_e32 v95, 3, v95
	v_add3_u32 v128, 0, v96, v97
	v_add3_u32 v129, 0, v99, v86
	;; [unrolled: 1-line block ×7, first 2 shown]
	ds_load_2addr_b64 v[86:89], v59 offset0:110 offset1:191
	ds_load_2addr_b64 v[90:93], v57 offset0:152 offset1:233
	;; [unrolled: 1-line block ×6, first 2 shown]
	ds_load_b64 v[118:119], v54 offset:6480
	ds_load_2addr_b64 v[110:113], v61 offset0:84 offset1:165
	ds_load_2addr_b32 v[120:121], v63 offset0:246 offset1:247
	ds_load_2addr_b64 v[114:117], v54 offset1:81
	v_and_b32_e32 v76, 0xffff, v76
	v_and_b32_e32 v80, 0xffff, v80
	v_mul_lo_u16 v122, 0x5a, v78
	s_wait_loadcnt_dscnt 0x90b
	v_mul_f32_e32 v136, v82, v7
	v_mul_f32_e32 v7, v81, v7
	s_wait_loadcnt_dscnt 0x80a
	v_mul_f32_e32 v137, v49, v1
	v_mul_f32_e32 v1, v48, v1
	v_dual_mul_f32 v135, v47, v5 :: v_dual_fmac_f32 v136, v81, v6
	v_fma_f32 v81, v82, v6, -v7
	v_mul_f32_e32 v82, v84, v3
	v_mul_f32_e32 v3, v83, v3
	v_fmac_f32_e32 v137, v48, v0
	v_fma_f32 v139, v49, v0, -v1
	s_delay_alu instid0(VALU_DEP_4) | instskip(NEXT) | instid1(VALU_DEP_4)
	v_dual_mul_f32 v5, v46, v5 :: v_dual_fmac_f32 v82, v83, v2
	v_fma_f32 v83, v84, v2, -v3
	s_wait_loadcnt_dscnt 0x509
	v_mul_f32_e32 v84, v87, v9
	v_mul_f32_e32 v0, v86, v9
	s_wait_dscnt 0x8
	v_mul_f32_e32 v1, v90, v11
	s_wait_loadcnt 0x4
	v_mul_f32_e32 v141, v89, v13
	v_dual_mul_f32 v9, v88, v13 :: v_dual_mul_f32 v140, v91, v11
	v_fmac_f32_e32 v84, v86, v8
	v_fma_f32 v13, v87, v8, -v0
	v_fma_f32 v86, v91, v10, -v1
	v_fmac_f32_e32 v141, v88, v12
	v_fma_f32 v12, v89, v12, -v9
	s_wait_dscnt 0x7
	v_mul_f32_e32 v89, v97, v33
	s_wait_loadcnt_dscnt 0x204
	v_mul_f32_e32 v91, v109, v31
	v_mul_f32_e32 v31, v108, v31
	v_fma_f32 v138, v47, v4, -v5
	ds_load_2addr_b64 v[0:3], v55 offset0:102 offset1:183
	v_mul_f32_e32 v33, v96, v33
	v_fmac_f32_e32 v89, v96, v32
	v_fma_f32 v96, v109, v30, -v31
	v_sub_f32_e32 v109, v13, v86
	v_fmac_f32_e32 v135, v46, v4
	ds_load_2addr_b64 v[4:7], v54 offset0:162 offset1:243
	ds_load_2addr_b64 v[46:49], v64 offset0:68 offset1:149
	v_dual_fmac_f32 v140, v90, v10 :: v_dual_mul_f32 v87, v93, v15
	v_mul_f32_e32 v15, v92, v15
	v_mul_f32_e32 v90, v101, v35
	;; [unrolled: 1-line block ×3, first 2 shown]
	v_fma_f32 v32, v97, v32, -v33
	v_fmac_f32_e32 v87, v92, v14
	v_fma_f32 v88, v93, v14, -v15
	v_mul_f32_e32 v14, v95, v37
	v_mul_f32_e32 v15, v94, v37
	;; [unrolled: 1-line block ×3, first 2 shown]
	v_dual_mul_f32 v39, v98, v39 :: v_dual_fmac_f32 v90, v100, v34
	v_fma_f32 v34, v101, v34, -v35
	s_wait_loadcnt_dscnt 0x106
	v_mul_f32_e32 v35, v21, v119
	v_dual_mul_f32 v21, v21, v118 :: v_dual_fmac_f32 v14, v94, v36
	v_fma_f32 v15, v95, v36, -v15
	v_fmac_f32_e32 v37, v98, v38
	v_fma_f32 v36, v99, v38, -v39
	v_mul_f32_e32 v38, v103, v25
	v_mul_f32_e32 v25, v102, v25
	;; [unrolled: 1-line block ×3, first 2 shown]
	s_wait_dscnt 0x5
	v_dual_mul_f32 v29, v104, v29 :: v_dual_mul_f32 v92, v23, v111
	s_wait_loadcnt_dscnt 0x4
	v_dual_mul_f32 v23, v23, v110 :: v_dual_mul_f32 v94, v121, v17
	v_mul_f32_e32 v17, v17, v120
	v_fmac_f32_e32 v35, v20, v118
	v_fma_f32 v20, v20, v119, -v21
	v_add_f32_e32 v147, v89, v90
	ds_load_2addr_b64 v[8:11], v58 offset0:136 offset1:217
	v_mul_f32_e32 v93, v113, v19
	v_dual_mul_f32 v19, v112, v19 :: v_dual_fmac_f32 v38, v102, v24
	v_fma_f32 v24, v103, v24, -v25
	v_fmac_f32_e32 v33, v104, v28
	v_fma_f32 v25, v105, v28, -v29
	v_fma_f32 v21, v22, v111, -v23
	v_fmac_f32_e32 v94, v16, v120
	v_fma_f32 v16, v121, v16, -v17
	s_wait_dscnt 0x2
	v_dual_add_f32 v17, v115, v20 :: v_dual_add_f32 v28, v5, v138
	v_add_f32_e32 v143, v2, v89
	v_sub_f32_e32 v145, v32, v34
	v_fma_f32 v2, -0.5, v147, v2
	v_mul_f32_e32 v39, v107, v27
	v_mul_f32_e32 v27, v106, v27
	v_fmac_f32_e32 v92, v22, v110
	v_fmac_f32_e32 v93, v112, v18
	v_fma_f32 v18, v113, v18, -v19
	s_wait_dscnt 0x1
	v_dual_add_f32 v110, v47, v13 :: v_dual_add_f32 v111, v13, v86
	v_sub_f32_e32 v148, v89, v90
	v_add_f32_e32 v13, v17, v21
	v_dual_add_f32 v17, v28, v81 :: v_dual_add_f32 v28, v143, v90
	v_fmamk_f32 v90, v145, 0xbf5db3d7, v2
	v_dual_fmac_f32 v2, 0x3f5db3d7, v145 :: v_dual_add_f32 v113, v141, v87
	v_fma_f32 v95, v107, v26, -v27
	v_fmac_f32_e32 v39, v106, v26
	v_fmac_f32_e32 v91, v108, v30
	v_dual_add_f32 v19, v35, v92 :: v_dual_add_f32 v22, v20, v21
	v_add_f32_e32 v23, v117, v16
	v_sub_f32_e32 v99, v16, v18
	v_add_f32_e32 v26, v16, v18
	v_add_f32_e32 v16, v116, v94
	v_add_f32_e32 v29, v4, v135
	v_add_f32_e32 v107, v46, v84
	v_add_f32_e32 v108, v84, v140
	v_sub_f32_e32 v112, v84, v140
	v_add_f32_e32 v84, v48, v141
	v_sub_f32_e32 v118, v12, v88
	v_fma_f32 v48, -0.5, v113, v48
	v_dual_sub_f32 v97, v20, v21 :: v_dual_add_f32 v20, v114, v35
	v_dual_add_f32 v27, v94, v93 :: v_dual_sub_f32 v98, v35, v92
	v_add_f32_e32 v35, v138, v81
	v_add_f32_e32 v101, v135, v136
	v_dual_add_f32 v89, v24, v95 :: v_dual_sub_f32 v94, v94, v93
	v_sub_f32_e32 v100, v138, v81
	v_sub_f32_e32 v102, v135, v136
	v_add_f32_e32 v104, v139, v83
	v_sub_f32_e32 v105, v139, v83
	v_dual_add_f32 v31, v7, v139 :: v_dual_add_f32 v120, v12, v88
	v_sub_f32_e32 v121, v141, v87
	v_dual_add_f32 v135, v0, v14 :: v_dual_add_f32 v138, v1, v15
	v_sub_f32_e32 v139, v15, v36
	v_add_f32_e32 v141, v15, v36
	v_add_f32_e32 v142, v3, v32
	v_sub_f32_e32 v144, v14, v37
	v_add_f32_e32 v146, v32, v34
	v_add_f32_e32 v15, v23, v18
	v_fma_f32 v18, -0.5, v19, v114
	v_fma_f32 v19, -0.5, v22, v115
	v_add_f32_e32 v81, v25, v96
	v_add_f32_e32 v23, v110, v86
	v_fmamk_f32 v86, v118, 0xbf5db3d7, v48
	v_fmac_f32_e32 v48, 0x3f5db3d7, v118
	v_dual_add_f32 v103, v137, v82 :: v_dual_add_f32 v30, v6, v137
	v_dual_sub_f32 v106, v137, v82 :: v_dual_add_f32 v137, v14, v37
	v_dual_add_f32 v14, v16, v93 :: v_dual_add_f32 v93, v38, v39
	v_add_f32_e32 v16, v29, v136
	v_add_f32_e32 v136, v33, v91
	v_add_f32_e32 v119, v49, v12
	v_add_f32_e32 v12, v20, v92
	s_wait_dscnt 0x0
	v_add_f32_e32 v92, v8, v38
	v_sub_f32_e32 v150, v38, v39
	v_add_f32_e32 v38, v11, v25
	v_fma_f32 v116, -0.5, v27, v116
	v_dual_fmac_f32 v117, -0.5, v26 :: v_dual_add_f32 v32, v9, v24
	v_fma_f32 v4, -0.5, v101, v4
	v_fma_f32 v5, -0.5, v35, v5
	;; [unrolled: 1-line block ×3, first 2 shown]
	v_dual_sub_f32 v149, v24, v95 :: v_dual_sub_f32 v114, v25, v96
	v_add_f32_e32 v115, v10, v33
	v_sub_f32_e32 v151, v33, v91
	v_dual_add_f32 v27, v138, v36 :: v_dual_add_f32 v26, v135, v37
	v_add_f32_e32 v29, v142, v34
	v_fma_f32 v6, -0.5, v103, v6
	v_fmac_f32_e32 v7, -0.5, v104
	v_fma_f32 v34, -0.5, v108, v46
	v_fma_f32 v35, -0.5, v111, v47
	v_fmac_f32_e32 v49, -0.5, v120
	v_fma_f32 v0, -0.5, v137, v0
	;; [unrolled: 3-line block ×3, first 2 shown]
	v_fma_f32 v10, -0.5, v136, v10
	v_dual_fmac_f32 v11, -0.5, v81 :: v_dual_fmamk_f32 v36, v97, 0xbf5db3d7, v18
	v_dual_fmamk_f32 v37, v98, 0x3f5db3d7, v19 :: v_dual_fmac_f32 v18, 0x3f5db3d7, v97
	v_fmac_f32_e32 v19, 0xbf5db3d7, v98
	v_add_f32_e32 v20, v30, v82
	v_dual_add_f32 v30, v92, v39 :: v_dual_add_f32 v33, v38, v96
	v_fmamk_f32 v38, v99, 0xbf5db3d7, v116
	v_fmamk_f32 v39, v94, 0x3f5db3d7, v117
	v_dual_fmac_f32 v116, 0x3f5db3d7, v99 :: v_dual_lshlrev_b32 v125, 4, v80
	v_dual_fmac_f32 v117, 0xbf5db3d7, v94 :: v_dual_fmamk_f32 v46, v100, 0xbf5db3d7, v4
	v_fmamk_f32 v47, v102, 0x3f5db3d7, v5
	v_fmamk_f32 v93, v150, 0x3f5db3d7, v9
	v_fmac_f32_e32 v9, 0xbf5db3d7, v150
	global_wb scope:SCOPE_SE
	s_barrier_signal -1
	s_barrier_wait -1
	global_inv scope:SCOPE_SE
	v_add_f32_e32 v21, v31, v83
	v_add_f32_e32 v22, v107, v140
	;; [unrolled: 1-line block ×5, first 2 shown]
	v_fmac_f32_e32 v4, 0x3f5db3d7, v100
	v_fmac_f32_e32 v5, 0xbf5db3d7, v102
	v_fmamk_f32 v81, v105, 0xbf5db3d7, v6
	v_fmamk_f32 v82, v106, 0x3f5db3d7, v7
	v_fmac_f32_e32 v6, 0x3f5db3d7, v105
	v_fmac_f32_e32 v7, 0xbf5db3d7, v106
	v_fmamk_f32 v83, v109, 0xbf5db3d7, v34
	v_fmac_f32_e32 v34, 0x3f5db3d7, v109
	v_fmamk_f32 v88, v139, 0xbf5db3d7, v0
	v_dual_fmac_f32 v0, 0x3f5db3d7, v139 :: v_dual_fmamk_f32 v89, v144, 0x3f5db3d7, v1
	v_fmac_f32_e32 v1, 0xbf5db3d7, v144
	v_fmamk_f32 v91, v148, 0x3f5db3d7, v3
	v_dual_fmac_f32 v3, 0xbf5db3d7, v148 :: v_dual_fmamk_f32 v92, v149, 0xbf5db3d7, v8
	v_fmac_f32_e32 v8, 0x3f5db3d7, v149
	v_fmamk_f32 v94, v114, 0xbf5db3d7, v10
	v_add_f32_e32 v24, v84, v87
	v_fmamk_f32 v84, v112, 0x3f5db3d7, v35
	v_fmac_f32_e32 v35, 0xbf5db3d7, v112
	v_fmamk_f32 v87, v121, 0x3f5db3d7, v49
	v_fmac_f32_e32 v49, 0xbf5db3d7, v121
	v_dual_fmac_f32 v10, 0x3f5db3d7, v114 :: v_dual_fmamk_f32 v95, v151, 0x3f5db3d7, v11
	v_fmac_f32_e32 v11, 0xbf5db3d7, v151
	ds_store_2addr_b64 v123, v[12:13], v[36:37] offset1:30
	ds_store_b64 v123, v[18:19] offset:480
	ds_store_2addr_b64 v126, v[14:15], v[38:39] offset1:30
	ds_store_b64 v126, v[116:117] offset:480
	;; [unrolled: 2-line block ×10, first 2 shown]
	v_sub_nc_u16 v9, v70, v122
	v_mul_u32_u24_e32 v12, 0x2d83, v53
	v_mul_u32_u24_e32 v17, 0x2d83, v75
	;; [unrolled: 1-line block ×3, first 2 shown]
	v_mul_lo_u16 v8, 0x5a, v85
	v_and_b32_e32 v82, 0xffff, v9
	v_mul_u32_u24_e32 v9, 0x2d83, v51
	v_lshrrev_b32_e32 v86, 20, v12
	v_lshrrev_b32_e32 v88, 20, v17
	;; [unrolled: 1-line block ×3, first 2 shown]
	v_sub_nc_u16 v8, v67, v8
	v_lshrrev_b32_e32 v84, 20, v9
	v_mul_lo_u16 v19, 0x5a, v86
	v_mov_b32_e32 v47, 0
	v_mul_lo_u16 v17, 0x5a, v17
	v_and_b32_e32 v83, 0xffff, v8
	v_mul_lo_u16 v16, 0x5a, v84
	v_sub_nc_u16 v18, v72, v19
	v_add_nc_u32_e32 v19, -9, v40
	v_sub_nc_u16 v17, v71, v17
	v_lshlrev_b32_e32 v124, 4, v79
	v_sub_nc_u16 v16, v73, v16
	v_and_b32_e32 v89, 0xffff, v18
	s_wait_alu 0xf1ff
	v_cndmask_b32_e64 v92, v19, v52, s0
	v_lshlrev_b32_e32 v46, 1, v40
	v_and_b32_e32 v91, 0xffff, v17
	v_and_b32_e32 v87, 0xffff, v16
	v_mul_lo_u16 v16, 0x5a, v88
	v_dual_mov_b32 v17, v47 :: v_dual_lshlrev_b32 v20, 4, v89
	global_wb scope:SCOPE_SE
	s_wait_dscnt 0x0
	v_lshlrev_b32_e32 v18, 4, v87
	v_sub_nc_u16 v16, v69, v16
	s_barrier_signal -1
	s_barrier_wait -1
	global_inv scope:SCOPE_SE
	global_load_b128 v[4:7], v125, s[8:9] offset:640
	v_and_b32_e32 v90, 0xffff, v16
	v_lshlrev_b32_e32 v16, 1, v92
	v_lshlrev_b32_e32 v8, 4, v82
	;; [unrolled: 1-line block ×3, first 2 shown]
	s_clause 0x2
	global_load_b128 v[0:3], v124, s[8:9] offset:640
	global_load_b128 v[36:39], v18, s[8:9] offset:640
	;; [unrolled: 1-line block ×3, first 2 shown]
	v_lshlrev_b64_e32 v[18:19], 3, v[46:47]
	v_lshlrev_b64_e32 v[16:17], 3, v[16:17]
	s_clause 0x1
	global_load_b128 v[8:11], v8, s[8:9] offset:640
	global_load_b128 v[12:15], v13, s[8:9] offset:640
	v_lshlrev_b32_e32 v20, 4, v90
	v_lshlrev_b32_e32 v21, 4, v91
	v_add_co_u32 v48, s0, s8, v18
	s_wait_alu 0xf1ff
	v_add_co_ci_u32_e64 v49, s0, s9, v19, s0
	v_add_co_u32 v16, s0, s8, v16
	s_wait_alu 0xf1ff
	v_add_co_ci_u32_e64 v17, s0, s9, v17, s0
	s_clause 0x3
	global_load_b128 v[24:27], v20, s[8:9] offset:640
	global_load_b128 v[20:23], v21, s[8:9] offset:640
	global_load_b128 v[28:31], v[48:49], off offset:640
	global_load_b128 v[16:19], v[16:17], off offset:640
	v_cmp_lt_u32_e64 s0, 8, v40
	v_subrev_nc_u32_e32 v81, 27, v40
	v_dual_mov_b32 v94, v47 :: v_dual_lshlrev_b32 v93, 1, v50
	v_mov_b32_e32 v96, v47
	s_wait_alu 0xf1ff
	v_cndmask_b32_e64 v97, 0, 0x870, s0
	v_cmp_gt_u32_e64 s0, 27, v40
	v_lshlrev_b32_e32 v50, 3, v92
	v_lshlrev_b64_e32 v[92:93], 3, v[93:94]
	v_mul_u32_u24_e32 v126, 0x795d, v51
	v_mul_u32_u24_e32 v86, 0x870, v86
	s_wait_alu 0xf1ff
	v_cndmask_b32_e64 v81, v81, v68, s0
	v_add3_u32 v127, 0, v97, v50
	v_mul_u32_u24_e32 v97, 0x870, v84
	v_add_co_u32 v50, s0, s8, v92
	s_delay_alu instid0(VALU_DEP_4)
	v_lshlrev_b32_e32 v95, 1, v81
	v_mul_u32_u24_e32 v84, 0x870, v76
	s_wait_alu 0xf1ff
	v_add_co_ci_u32_e64 v51, s0, s9, v93, s0
	v_mul_u32_u24_e32 v92, 0x870, v77
	v_lshlrev_b64_e32 v[94:95], 3, v[95:96]
	v_mul_u32_u24_e32 v96, 0x870, v85
	v_lshlrev_b32_e32 v85, 3, v79
	v_mul_u32_u24_e32 v93, 0x870, v78
	ds_load_2addr_b64 v[76:79], v41 offset0:76 offset1:157
	v_mul_u32_u24_e32 v88, 0x870, v88
	v_add_co_u32 v120, s0, s8, v94
	s_wait_alu 0xf1ff
	v_add_co_ci_u32_e64 v121, s0, s9, v95, s0
	v_lshlrev_b32_e32 v94, 3, v82
	v_lshlrev_b32_e32 v95, 3, v83
	v_add3_u32 v129, 0, v84, v85
	ds_load_2addr_b64 v[82:85], v65 offset0:118 offset1:199
	v_lshlrev_b32_e32 v80, 3, v80
	v_lshlrev_b32_e32 v87, 3, v87
	;; [unrolled: 1-line block ×4, first 2 shown]
	v_lshl_add_u32 v128, v91, 3, 0
	v_add3_u32 v80, 0, v92, v80
	v_add3_u32 v130, 0, v93, v94
	;; [unrolled: 1-line block ×6, first 2 shown]
	ds_load_2addr_b64 v[86:89], v59 offset0:110 offset1:191
	ds_load_2addr_b64 v[90:93], v57 offset0:152 offset1:233
	;; [unrolled: 1-line block ×6, first 2 shown]
	ds_load_b64 v[122:123], v54 offset:6480
	ds_load_2addr_b64 v[110:113], v61 offset0:84 offset1:165
	ds_load_2addr_b32 v[124:125], v63 offset0:246 offset1:247
	ds_load_2addr_b64 v[114:117], v54 offset1:81
	v_add_nc_u32_e32 v118, 0x6c, v46
	v_add_nc_u32_e32 v135, 0x4000, v128
	;; [unrolled: 1-line block ×3, first 2 shown]
	v_lshlrev_b32_e32 v81, 3, v81
	s_wait_loadcnt_dscnt 0x90b
	v_mul_f32_e32 v138, v79, v5
	v_mul_f32_e32 v5, v78, v5
	s_wait_dscnt 0xa
	v_mul_f32_e32 v139, v85, v7
	s_wait_loadcnt 0x8
	v_dual_mul_f32 v7, v84, v7 :: v_dual_mul_f32 v136, v77, v1
	v_mul_f32_e32 v1, v76, v1
	v_mul_f32_e32 v137, v83, v3
	;; [unrolled: 1-line block ×3, first 2 shown]
	v_fmac_f32_e32 v138, v78, v4
	v_fma_f32 v78, v79, v4, -v5
	v_fmac_f32_e32 v139, v84, v6
	v_fma_f32 v79, v85, v6, -v7
	s_wait_loadcnt_dscnt 0x409
	v_mul_f32_e32 v84, v89, v13
	v_mul_f32_e32 v13, v88, v13
	s_wait_dscnt 0x8
	v_mul_f32_e32 v85, v93, v15
	v_mul_f32_e32 v15, v92, v15
	v_fmac_f32_e32 v136, v76, v0
	v_fma_f32 v76, v77, v0, -v1
	v_fmac_f32_e32 v137, v82, v2
	v_fma_f32 v77, v83, v2, -v3
	ds_load_2addr_b64 v[0:3], v54 offset0:162 offset1:243
	v_mul_f32_e32 v82, v87, v9
	v_mul_f32_e32 v9, v86, v9
	;; [unrolled: 1-line block ×3, first 2 shown]
	v_dual_mul_f32 v11, v90, v11 :: v_dual_fmac_f32 v84, v88, v12
	v_fma_f32 v88, v89, v12, -v13
	v_fma_f32 v89, v93, v14, -v15
	s_wait_dscnt 0x7
	v_mul_f32_e32 v93, v101, v35
	v_mul_f32_e32 v35, v100, v35
	ds_load_2addr_b64 v[4:7], v64 offset0:68 offset1:149
	v_fmac_f32_e32 v82, v86, v8
	v_fma_f32 v86, v87, v8, -v9
	v_fmac_f32_e32 v83, v90, v10
	v_fma_f32 v87, v91, v10, -v11
	ds_load_2addr_b64 v[8:11], v55 offset0:102 offset1:183
	v_fmac_f32_e32 v85, v92, v14
	ds_load_2addr_b64 v[12:15], v58 offset0:136 offset1:217
	v_mul_f32_e32 v90, v95, v37
	v_mul_f32_e32 v37, v94, v37
	v_mul_f32_e32 v91, v99, v39
	v_dual_mul_f32 v39, v98, v39 :: v_dual_mul_f32 v92, v97, v33
	v_mul_f32_e32 v33, v96, v33
	v_fmac_f32_e32 v93, v100, v34
	v_fma_f32 v34, v101, v34, -v35
	s_wait_loadcnt_dscnt 0x107
	v_dual_mul_f32 v35, v29, v123 :: v_dual_fmac_f32 v90, v94, v36
	v_fma_f32 v36, v95, v36, -v37
	v_fmac_f32_e32 v91, v98, v38
	v_fma_f32 v37, v99, v38, -v39
	v_mul_f32_e32 v38, v103, v25
	v_dual_mul_f32 v25, v102, v25 :: v_dual_fmac_f32 v92, v96, v32
	v_fma_f32 v32, v97, v32, -v33
	v_mul_f32_e32 v33, v105, v21
	v_mul_f32_e32 v21, v104, v21
	;; [unrolled: 1-line block ×3, first 2 shown]
	s_wait_dscnt 0x6
	v_mul_f32_e32 v95, v31, v111
	v_mul_f32_e32 v31, v31, v110
	s_wait_loadcnt_dscnt 0x5
	v_mul_f32_e32 v97, v125, v17
	v_mul_f32_e32 v17, v17, v124
	v_mul_f32_e32 v96, v113, v19
	v_mul_f32_e32 v19, v112, v19
	v_fmac_f32_e32 v35, v28, v122
	v_mul_f32_e32 v39, v107, v27
	v_mul_f32_e32 v27, v106, v27
	;; [unrolled: 1-line block ×3, first 2 shown]
	v_dual_mul_f32 v23, v108, v23 :: v_dual_fmac_f32 v38, v102, v24
	v_fma_f32 v24, v103, v24, -v25
	v_fmac_f32_e32 v33, v104, v20
	v_fma_f32 v25, v105, v20, -v21
	v_fma_f32 v20, v28, v123, -v29
	v_fmac_f32_e32 v95, v30, v110
	v_fma_f32 v21, v30, v111, -v31
	v_fmac_f32_e32 v97, v16, v124
	;; [unrolled: 2-line block ×3, first 2 shown]
	v_fma_f32 v18, v113, v18, -v19
	s_wait_dscnt 0x4
	v_add_f32_e32 v19, v114, v35
	v_fmac_f32_e32 v39, v106, v26
	v_fma_f32 v98, v107, v26, -v27
	v_fmac_f32_e32 v94, v108, v22
	v_fma_f32 v99, v109, v22, -v23
	v_add_f32_e32 v17, v115, v20
	v_dual_add_f32 v26, v35, v95 :: v_dual_add_f32 v27, v20, v21
	v_dual_sub_f32 v100, v20, v21 :: v_dual_sub_f32 v101, v35, v95
	v_add_f32_e32 v20, v116, v97
	v_add_f32_e32 v22, v117, v16
	s_wait_dscnt 0x3
	v_add_f32_e32 v23, v1, v76
	v_dual_add_f32 v30, v0, v136 :: v_dual_add_f32 v31, v2, v138
	v_dual_add_f32 v35, v3, v78 :: v_dual_add_f32 v28, v97, v96
	v_add_f32_e32 v29, v16, v18
	v_sub_f32_e32 v102, v16, v18
	v_sub_f32_e32 v103, v76, v77
	v_add_f32_e32 v76, v76, v77
	v_add_f32_e32 v104, v136, v137
	;; [unrolled: 1-line block ×3, first 2 shown]
	v_dual_sub_f32 v109, v138, v139 :: v_dual_add_f32 v138, v36, v37
	v_dual_add_f32 v16, v19, v95 :: v_dual_add_f32 v95, v92, v93
	v_sub_f32_e32 v97, v97, v96
	v_sub_f32_e32 v105, v136, v137
	v_add_f32_e32 v107, v78, v79
	v_sub_f32_e32 v108, v78, v79
	s_wait_dscnt 0x2
	v_add_f32_e32 v78, v4, v82
	v_dual_add_f32 v110, v82, v83 :: v_dual_add_f32 v111, v5, v86
	v_sub_f32_e32 v112, v86, v87
	v_dual_add_f32 v86, v86, v87 :: v_dual_add_f32 v113, v7, v88
	v_add_f32_e32 v122, v6, v84
	v_dual_sub_f32 v123, v82, v83 :: v_dual_sub_f32 v124, v88, v89
	v_add_f32_e32 v82, v88, v89
	v_add_f32_e32 v88, v84, v85
	s_wait_dscnt 0x1
	v_dual_sub_f32 v125, v84, v85 :: v_dual_add_f32 v84, v9, v36
	v_dual_add_f32 v140, v90, v91 :: v_dual_add_f32 v141, v11, v32
	v_add_f32_e32 v143, v32, v34
	v_add_f32_e32 v17, v17, v21
	s_wait_dscnt 0x0
	v_dual_add_f32 v144, v13, v24 :: v_dual_add_f32 v19, v22, v18
	v_add_f32_e32 v18, v20, v96
	v_sub_f32_e32 v96, v24, v98
	v_add_f32_e32 v145, v24, v98
	v_dual_add_f32 v146, v12, v38 :: v_dual_add_f32 v21, v23, v77
	v_add_f32_e32 v20, v30, v137
	v_add_f32_e32 v77, v38, v39
	v_dual_sub_f32 v137, v38, v39 :: v_dual_add_f32 v38, v15, v25
	v_add_f32_e32 v22, v31, v139
	v_add_f32_e32 v23, v35, v79
	v_sub_f32_e32 v139, v25, v99
	v_add_f32_e32 v79, v25, v99
	v_fma_f32 v24, -0.5, v26, v114
	v_fma_f32 v25, -0.5, v27, v115
	v_add_f32_e32 v115, v33, v94
	v_fma_f32 v116, -0.5, v28, v116
	v_fmac_f32_e32 v117, -0.5, v29
	v_sub_f32_e32 v136, v36, v37
	v_add_f32_e32 v36, v8, v90
	v_sub_f32_e32 v90, v90, v91
	v_sub_f32_e32 v142, v32, v34
	v_add_f32_e32 v32, v10, v92
	v_fma_f32 v0, -0.5, v104, v0
	v_fma_f32 v1, -0.5, v76, v1
	;; [unrolled: 1-line block ×4, first 2 shown]
	v_sub_f32_e32 v92, v92, v93
	v_dual_add_f32 v114, v14, v33 :: v_dual_sub_f32 v147, v33, v94
	v_add_f32_e32 v31, v84, v37
	v_dual_add_f32 v33, v141, v34 :: v_dual_add_f32 v34, v146, v39
	v_add_f32_e32 v37, v38, v99
	v_fma_f32 v2, -0.5, v106, v2
	v_fmac_f32_e32 v3, -0.5, v107
	v_fma_f32 v4, -0.5, v110, v4
	v_fma_f32 v5, -0.5, v86, v5
	;; [unrolled: 1-line block ×3, first 2 shown]
	v_fmac_f32_e32 v7, -0.5, v82
	v_fma_f32 v8, -0.5, v140, v8
	v_fmac_f32_e32 v11, -0.5, v143
	v_fma_f32 v12, -0.5, v77, v12
	v_fma_f32 v13, -0.5, v145, v13
	;; [unrolled: 1-line block ×3, first 2 shown]
	v_dual_fmac_f32 v15, -0.5, v79 :: v_dual_fmamk_f32 v38, v100, 0xbf5db3d7, v24
	v_dual_fmamk_f32 v39, v101, 0x3f5db3d7, v25 :: v_dual_fmac_f32 v24, 0x3f5db3d7, v100
	v_dual_fmac_f32 v25, 0xbf5db3d7, v101 :: v_dual_fmamk_f32 v76, v102, 0xbf5db3d7, v116
	v_dual_fmamk_f32 v77, v97, 0x3f5db3d7, v117 :: v_dual_fmac_f32 v116, 0x3f5db3d7, v102
	v_dual_fmac_f32 v117, 0xbf5db3d7, v97 :: v_dual_add_f32 v26, v78, v83
	v_dual_add_f32 v29, v113, v89 :: v_dual_fmamk_f32 v78, v103, 0xbf5db3d7, v0
	v_fmamk_f32 v79, v105, 0x3f5db3d7, v1
	v_fmamk_f32 v89, v90, 0x3f5db3d7, v9
	v_dual_fmac_f32 v9, 0xbf5db3d7, v90 :: v_dual_fmamk_f32 v90, v142, 0xbf5db3d7, v10
	v_dual_fmac_f32 v10, 0x3f5db3d7, v142 :: v_dual_mov_b32 v119, v47
	global_wb scope:SCOPE_SE
	s_barrier_signal -1
	s_barrier_wait -1
	global_inv scope:SCOPE_SE
	v_dual_add_f32 v27, v111, v87 :: v_dual_add_f32 v28, v122, v85
	v_add_f32_e32 v30, v36, v91
	v_add_f32_e32 v32, v32, v93
	;; [unrolled: 1-line block ×4, first 2 shown]
	v_fmac_f32_e32 v0, 0x3f5db3d7, v103
	v_dual_fmac_f32 v1, 0xbf5db3d7, v105 :: v_dual_fmamk_f32 v82, v108, 0xbf5db3d7, v2
	v_dual_fmamk_f32 v83, v109, 0x3f5db3d7, v3 :: v_dual_fmac_f32 v2, 0x3f5db3d7, v108
	v_dual_fmac_f32 v3, 0xbf5db3d7, v109 :: v_dual_fmamk_f32 v84, v112, 0xbf5db3d7, v4
	v_dual_fmac_f32 v4, 0x3f5db3d7, v112 :: v_dual_fmamk_f32 v85, v123, 0x3f5db3d7, v5
	;; [unrolled: 1-line block ×10, first 2 shown]
	v_fmac_f32_e32 v15, 0xbf5db3d7, v147
	ds_store_2addr_b64 v54, v[16:17], v[38:39] offset1:90
	ds_store_b64 v54, v[24:25] offset:1440
	ds_store_2addr_b64 v127, v[18:19], v[76:77] offset1:90
	ds_store_b64 v127, v[116:117] offset:1440
	;; [unrolled: 2-line block ×9, first 2 shown]
	ds_store_2addr_b64 v135, v[36:37], v[94:95] offset0:112 offset1:202
	ds_store_b64 v128, v[14:15] offset:18720
	v_lshrrev_b32_e32 v78, 23, v126
	v_lshlrev_b64_e32 v[8:9], 3, v[118:119]
	v_lshlrev_b64_e32 v[10:11], 3, v[46:47]
	v_mul_u32_u24_e32 v12, 0x795d, v53
	v_mul_u32_u24_e32 v13, 0x795d, v75
	v_mul_lo_u16 v15, 0x10e, v78
	v_mul_u32_u24_e32 v14, 0x795d, v74
	v_add_co_u32 v8, s0, s8, v8
	s_wait_alu 0xf1ff
	v_add_co_ci_u32_e64 v9, s0, s9, v9, s0
	v_sub_nc_u16 v15, v73, v15
	v_add_co_u32 v10, s0, s8, v10
	s_wait_alu 0xf1ff
	v_add_co_ci_u32_e64 v11, s0, s9, v11, s0
	s_delay_alu instid0(VALU_DEP_3)
	v_and_b32_e32 v74, 0xffff, v15
	v_lshrrev_b32_e32 v12, 23, v12
	global_wb scope:SCOPE_SE
	s_wait_dscnt 0x0
	s_barrier_signal -1
	s_barrier_wait -1
	global_inv scope:SCOPE_SE
	s_clause 0x1
	global_load_b128 v[4:7], v[120:121], off offset:2080
	global_load_b128 v[24:27], v[10:11], off offset:2080
	v_lshrrev_b32_e32 v13, 23, v13
	v_lshlrev_b32_e32 v11, 4, v74
	v_lshrrev_b32_e32 v14, 23, v14
	v_mul_lo_u16 v12, 0x10e, v12
	s_clause 0x2
	global_load_b128 v[36:39], v[8:9], off offset:2080
	global_load_b128 v[0:3], v[50:51], off offset:2080
	global_load_b128 v[32:35], v11, s[8:9] offset:2080
	v_mul_lo_u16 v8, 0x10e, v13
	v_sub_nc_u16 v9, v72, v12
	v_mul_lo_u16 v10, 0x10e, v14
	v_dual_mov_b32 v13, v47 :: v_dual_lshlrev_b32 v12, 1, v52
	s_delay_alu instid0(VALU_DEP_4) | instskip(NEXT) | instid1(VALU_DEP_4)
	v_sub_nc_u16 v8, v69, v8
	v_and_b32_e32 v75, 0xffff, v9
	s_delay_alu instid0(VALU_DEP_4)
	v_sub_nc_u16 v9, v71, v10
	v_lshlrev_b32_e32 v46, 1, v68
	v_lshlrev_b64_e32 v[12:13], 3, v[12:13]
	v_and_b32_e32 v76, 0xffff, v8
	v_lshlrev_b32_e32 v10, 4, v75
	v_and_b32_e32 v77, 0xffff, v9
	v_lshlrev_b64_e32 v[79:80], 3, v[46:47]
	v_lshlrev_b32_e32 v46, 1, v70
	v_add_co_u32 v52, s0, s8, v12
	v_lshlrev_b32_e32 v14, 4, v76
	s_wait_alu 0xf1ff
	v_add_co_ci_u32_e64 v53, s0, s9, v13, s0
	global_load_b128 v[8:11], v10, s[8:9] offset:2080
	v_lshlrev_b32_e32 v15, 4, v77
	s_clause 0x3
	global_load_b128 v[28:31], v14, s[8:9] offset:2080
	global_load_b128 v[20:23], v15, s[8:9] offset:2080
	global_load_b128 v[16:19], v[48:49], off offset:2080
	global_load_b128 v[12:15], v[52:53], off offset:2080
	v_cmp_lt_u32_e64 s0, 26, v40
	v_mul_u32_u24_e32 v86, 0x1950, v78
	v_lshl_add_u32 v133, v75, 3, 0
	v_lshl_add_u32 v134, v76, 3, 0
	;; [unrolled: 1-line block ×3, first 2 shown]
	s_wait_alu 0xf1ff
	v_cndmask_b32_e64 v68, 0, 0x1950, s0
	v_add_nc_u32_e32 v70, 0x400, v54
	s_delay_alu instid0(VALU_DEP_2)
	v_add3_u32 v132, 0, v68, v81
	v_lshlrev_b64_e32 v[81:82], 3, v[46:47]
	v_lshlrev_b32_e32 v46, 1, v67
	v_add_co_u32 v67, s0, s8, v79
	s_wait_alu 0xf1ff
	v_add_co_ci_u32_e64 v68, s0, s9, v80, s0
	s_delay_alu instid0(VALU_DEP_4)
	v_add_co_u32 v124, s0, s8, v81
	ds_load_2addr_b64 v[78:81], v41 offset0:76 offset1:157
	s_wait_alu 0xf1ff
	v_add_co_ci_u32_e64 v125, s0, s9, v82, s0
	ds_load_2addr_b64 v[82:85], v65 offset0:118 offset1:199
	v_lshlrev_b64_e32 v[122:123], 3, v[46:47]
	v_lshlrev_b32_e32 v46, 1, v73
	v_lshlrev_b32_e32 v73, 3, v74
	s_delay_alu instid0(VALU_DEP_2) | instskip(SKIP_1) | instid1(VALU_DEP_3)
	v_lshlrev_b64_e32 v[126:127], 3, v[46:47]
	v_lshlrev_b32_e32 v46, 1, v72
	v_add3_u32 v136, 0, v86, v73
	ds_load_2addr_b64 v[72:75], v59 offset0:110 offset1:191
	ds_load_2addr_b64 v[86:89], v57 offset0:152 offset1:233
	;; [unrolled: 1-line block ×6, first 2 shown]
	ds_load_b64 v[128:129], v54 offset:6480
	ds_load_2addr_b64 v[106:109], v61 offset0:84 offset1:165
	ds_load_2addr_b32 v[130:131], v63 offset0:246 offset1:247
	ds_load_2addr_b64 v[110:113], v54 offset0:162 offset1:243
	ds_load_2addr_b64 v[114:117], v54 offset1:81
	ds_load_2addr_b64 v[118:121], v64 offset0:68 offset1:149
	s_wait_loadcnt_dscnt 0x90d
	v_mul_f32_e32 v139, v81, v5
	v_mul_f32_e32 v5, v80, v5
	s_delay_alu instid0(VALU_DEP_2) | instskip(NEXT) | instid1(VALU_DEP_2)
	v_fmac_f32_e32 v139, v80, v4
	v_fma_f32 v4, v81, v4, -v5
	s_wait_loadcnt 0x6
	v_mul_f32_e32 v137, v79, v1
	s_wait_dscnt 0xc
	v_dual_mul_f32 v1, v78, v1 :: v_dual_mul_f32 v138, v83, v3
	v_mul_f32_e32 v3, v82, v3
	v_mul_f32_e32 v80, v85, v7
	v_mul_f32_e32 v5, v84, v7
	v_fmac_f32_e32 v137, v78, v0
	v_fma_f32 v140, v79, v0, -v1
	v_fmac_f32_e32 v138, v82, v2
	v_fma_f32 v82, v83, v2, -v3
	ds_load_2addr_b64 v[0:3], v55 offset0:102 offset1:183
	ds_load_2addr_b64 v[76:79], v58 offset0:136 offset1:217
	v_fmac_f32_e32 v80, v84, v6
	v_fma_f32 v81, v85, v6, -v5
	s_wait_dscnt 0xd
	v_mul_f32_e32 v5, v73, v37
	s_wait_dscnt 0xc
	v_dual_mul_f32 v6, v72, v37 :: v_dual_mul_f32 v37, v87, v39
	v_mul_f32_e32 v7, v86, v39
	v_mul_f32_e32 v39, v75, v25
	;; [unrolled: 1-line block ×5, first 2 shown]
	v_fmac_f32_e32 v5, v72, v36
	v_fma_f32 v6, v73, v36, -v6
	v_fmac_f32_e32 v37, v86, v38
	v_fma_f32 v36, v87, v38, -v7
	s_wait_loadcnt_dscnt 0x50b
	v_mul_f32_e32 v7, v91, v33
	s_wait_dscnt 0xa
	v_dual_mul_f32 v33, v90, v33 :: v_dual_mul_f32 v38, v95, v35
	v_mul_f32_e32 v35, v94, v35
	v_fmac_f32_e32 v39, v74, v24
	v_fma_f32 v24, v75, v24, -v25
	s_wait_loadcnt 0x4
	v_mul_f32_e32 v25, v93, v9
	v_dual_mul_f32 v9, v92, v9 :: v_dual_mul_f32 v72, v97, v11
	v_mul_f32_e32 v11, v96, v11
	v_fmac_f32_e32 v83, v88, v26
	v_fma_f32 v26, v89, v26, -v27
	s_wait_loadcnt_dscnt 0x309
	v_mul_f32_e32 v27, v99, v29
	v_mul_f32_e32 v29, v98, v29
	v_fmac_f32_e32 v7, v90, v32
	v_fma_f32 v32, v91, v32, -v33
	v_fmac_f32_e32 v38, v94, v34
	v_fma_f32 v33, v95, v34, -v35
	s_wait_loadcnt_dscnt 0x107
	v_mul_f32_e32 v34, v17, v129
	v_mul_f32_e32 v17, v17, v128
	s_wait_dscnt 0x6
	v_mul_f32_e32 v35, v19, v107
	v_mul_f32_e32 v19, v19, v106
	s_wait_loadcnt_dscnt 0x5
	v_dual_mul_f32 v84, v131, v13 :: v_dual_mul_f32 v13, v13, v130
	v_fmac_f32_e32 v25, v92, v8
	v_fma_f32 v8, v93, v8, -v9
	v_mul_f32_e32 v9, v109, v15
	v_mul_f32_e32 v15, v108, v15
	v_dual_mul_f32 v73, v103, v31 :: v_dual_mul_f32 v74, v101, v21
	v_mul_f32_e32 v21, v100, v21
	v_mul_f32_e32 v31, v102, v31
	;; [unrolled: 1-line block ×4, first 2 shown]
	v_fmac_f32_e32 v72, v96, v10
	v_fma_f32 v85, v97, v10, -v11
	v_fma_f32 v10, v99, v28, -v29
	v_fmac_f32_e32 v34, v16, v128
	v_fma_f32 v16, v16, v129, -v17
	v_fmac_f32_e32 v35, v18, v106
	;; [unrolled: 2-line block ×5, first 2 shown]
	v_fmac_f32_e32 v73, v102, v30
	v_fma_f32 v11, v101, v20, -v21
	v_fma_f32 v28, v103, v30, -v31
	v_fmac_f32_e32 v74, v100, v20
	v_fmac_f32_e32 v75, v104, v22
	v_fma_f32 v22, v105, v22, -v23
	v_dual_add_f32 v29, v34, v35 :: v_dual_add_f32 v30, v16, v17
	s_wait_dscnt 0x4
	v_add_f32_e32 v15, v111, v140
	s_wait_dscnt 0x3
	v_add_f32_e32 v18, v116, v84
	v_dual_add_f32 v19, v117, v12 :: v_dual_sub_f32 v90, v140, v82
	v_add_f32_e32 v91, v140, v82
	v_dual_add_f32 v20, v112, v139 :: v_dual_add_f32 v93, v139, v80
	v_add_f32_e32 v21, v113, v4
	v_sub_f32_e32 v96, v139, v80
	s_wait_dscnt 0x2
	v_dual_add_f32 v100, v121, v24 :: v_dual_sub_f32 v103, v24, v26
	v_add_f32_e32 v104, v24, v26
	s_wait_dscnt 0x1
	v_dual_add_f32 v24, v120, v39 :: v_dual_add_f32 v129, v2, v25
	v_add_f32_e32 v139, v25, v72
	v_sub_f32_e32 v140, v25, v72
	s_wait_dscnt 0x0
	v_add_f32_e32 v25, v77, v10
	v_add_f32_e32 v31, v84, v9
	;; [unrolled: 1-line block ×3, first 2 shown]
	v_dual_sub_f32 v86, v16, v17 :: v_dual_sub_f32 v87, v34, v35
	v_sub_f32_e32 v89, v12, v14
	v_add_f32_e32 v12, v114, v34
	v_add_f32_e32 v16, v115, v16
	v_dual_add_f32 v34, v137, v138 :: v_dual_add_f32 v23, v118, v5
	v_dual_add_f32 v143, v76, v27 :: v_dual_add_f32 v144, v27, v73
	v_sub_f32_e32 v145, v27, v73
	v_add_f32_e32 v27, v79, v11
	v_add_f32_e32 v109, v7, v38
	;; [unrolled: 1-line block ×3, first 2 shown]
	v_sub_f32_e32 v84, v84, v9
	v_dual_sub_f32 v92, v137, v138 :: v_dual_add_f32 v95, v4, v81
	v_add_f32_e32 v99, v6, v36
	v_add_f32_e32 v101, v5, v37
	;; [unrolled: 1-line block ×3, first 2 shown]
	v_dual_sub_f32 v106, v39, v83 :: v_dual_add_f32 v39, v1, v32
	v_sub_f32_e32 v107, v32, v33
	v_add_f32_e32 v32, v32, v33
	v_dual_add_f32 v128, v3, v8 :: v_dual_sub_f32 v131, v8, v85
	v_dual_add_f32 v137, v8, v85 :: v_dual_add_f32 v142, v10, v28
	v_sub_f32_e32 v146, v11, v22
	v_add_f32_e32 v147, v11, v22
	v_add_f32_e32 v149, v74, v75
	v_dual_add_f32 v8, v18, v9 :: v_dual_add_f32 v9, v19, v14
	v_dual_add_f32 v11, v21, v81 :: v_dual_add_f32 v14, v24, v83
	v_add_f32_e32 v21, v25, v28
	v_fma_f32 v24, -0.5, v29, v114
	v_fma_f32 v25, -0.5, v30, v115
	;; [unrolled: 1-line block ×3, first 2 shown]
	v_fmac_f32_e32 v117, -0.5, v88
	v_dual_add_f32 v97, v119, v6 :: v_dual_sub_f32 v98, v6, v36
	v_sub_f32_e32 v102, v5, v37
	v_add_f32_e32 v108, v0, v7
	v_sub_f32_e32 v130, v7, v38
	v_dual_add_f32 v5, v15, v82 :: v_dual_add_f32 v6, v12, v35
	v_add_f32_e32 v7, v16, v17
	v_dual_add_f32 v12, v23, v37 :: v_dual_add_f32 v15, v100, v26
	v_add_f32_e32 v23, v27, v22
	v_fma_f32 v26, -0.5, v34, v110
	v_fma_f32 v27, -0.5, v91, v111
	;; [unrolled: 1-line block ×3, first 2 shown]
	v_dual_sub_f32 v94, v4, v81 :: v_dual_sub_f32 v141, v10, v28
	v_add_f32_e32 v148, v78, v74
	v_sub_f32_e32 v150, v74, v75
	v_dual_add_f32 v4, v13, v138 :: v_dual_add_f32 v17, v39, v33
	v_fma_f32 v112, -0.5, v93, v112
	v_fmac_f32_e32 v113, -0.5, v95
	v_fma_f32 v28, -0.5, v101, v118
	v_fma_f32 v29, -0.5, v99, v119
	;; [unrolled: 1-line block ×3, first 2 shown]
	v_fmac_f32_e32 v121, -0.5, v104
	v_fma_f32 v1, -0.5, v32, v1
	v_fma_f32 v2, -0.5, v139, v2
	v_fmac_f32_e32 v3, -0.5, v137
	v_fma_f32 v30, -0.5, v144, v76
	v_fma_f32 v31, -0.5, v142, v77
	;; [unrolled: 1-line block ×3, first 2 shown]
	v_dual_fmac_f32 v79, -0.5, v147 :: v_dual_fmamk_f32 v32, v86, 0xbf5db3d7, v24
	v_dual_fmamk_f32 v33, v87, 0x3f5db3d7, v25 :: v_dual_fmac_f32 v24, 0x3f5db3d7, v86
	v_dual_fmac_f32 v25, 0xbf5db3d7, v87 :: v_dual_fmamk_f32 v34, v89, 0xbf5db3d7, v116
	v_dual_fmac_f32 v116, 0x3f5db3d7, v89 :: v_dual_fmamk_f32 v35, v84, 0x3f5db3d7, v117
	v_fmac_f32_e32 v117, 0xbf5db3d7, v84
	global_wb scope:SCOPE_SE
	s_barrier_signal -1
	s_barrier_wait -1
	global_inv scope:SCOPE_SE
	ds_store_2addr_b64 v54, v[6:7], v[8:9] offset1:81
	v_fmamk_f32 v6, v90, 0xbf5db3d7, v26
	v_dual_fmamk_f32 v7, v92, 0x3f5db3d7, v27 :: v_dual_fmac_f32 v26, 0x3f5db3d7, v90
	v_fmac_f32_e32 v27, 0xbf5db3d7, v92
	v_add_f32_e32 v10, v20, v80
	v_add_f32_e32 v18, v129, v72
	v_fmamk_f32 v72, v107, 0xbf5db3d7, v0
	v_dual_fmac_f32 v0, 0x3f5db3d7, v107 :: v_dual_add_f32 v13, v97, v36
	v_add_f32_e32 v16, v108, v38
	v_add_f32_e32 v19, v128, v85
	;; [unrolled: 1-line block ×4, first 2 shown]
	v_fmamk_f32 v8, v94, 0xbf5db3d7, v112
	v_dual_fmac_f32 v112, 0x3f5db3d7, v94 :: v_dual_fmamk_f32 v9, v96, 0x3f5db3d7, v113
	v_dual_fmac_f32 v113, 0xbf5db3d7, v96 :: v_dual_fmamk_f32 v36, v98, 0xbf5db3d7, v28
	;; [unrolled: 1-line block ×5, first 2 shown]
	v_fmac_f32_e32 v121, 0xbf5db3d7, v106
	v_fmamk_f32 v73, v130, 0x3f5db3d7, v1
	v_dual_fmac_f32 v1, 0xbf5db3d7, v130 :: v_dual_fmamk_f32 v74, v131, 0xbf5db3d7, v2
	v_dual_fmac_f32 v2, 0x3f5db3d7, v131 :: v_dual_fmamk_f32 v75, v140, 0x3f5db3d7, v3
	;; [unrolled: 1-line block ×6, first 2 shown]
	v_fmac_f32_e32 v79, 0xbf5db3d7, v150
	ds_store_2addr_b64 v70, v[4:5], v[32:33] offset0:34 offset1:142
	ds_store_2addr_b64 v58, v[24:25], v[116:117] offset0:28 offset1:109
	;; [unrolled: 1-line block ×3, first 2 shown]
	ds_store_b64 v54, v[26:27] offset:5616
	ds_store_b64 v132, v[10:11]
	ds_store_b64 v132, v[8:9] offset:2160
	ds_store_b64 v132, v[112:113] offset:4320
	ds_store_2addr_b64 v63, v[12:13], v[14:15] offset0:96 offset1:177
	ds_store_2addr_b64 v59, v[36:37], v[38:39] offset0:110 offset1:191
	;; [unrolled: 1-line block ×3, first 2 shown]
	ds_store_b64 v136, v[16:17]
	ds_store_b64 v136, v[72:73] offset:2160
	ds_store_b64 v136, v[0:1] offset:4320
	ds_store_b64 v133, v[18:19] offset:12960
	ds_store_b64 v133, v[74:75] offset:15120
	ds_store_b64 v133, v[2:3] offset:17280
	ds_store_b64 v134, v[20:21] offset:12960
	ds_store_b64 v134, v[76:77] offset:15120
	ds_store_b64 v134, v[30:31] offset:17280
	ds_store_b64 v135, v[22:23] offset:12960
	ds_store_b64 v135, v[80:81] offset:15120
	ds_store_b64 v135, v[78:79] offset:17280
	v_add_co_u32 v0, s0, s8, v122
	s_wait_alu 0xf1ff
	v_add_co_ci_u32_e64 v1, s0, s9, v123, s0
	v_add_co_u32 v4, s0, s8, v126
	v_lshlrev_b64_e32 v[2:3], 3, v[46:47]
	s_wait_alu 0xf1ff
	v_add_co_ci_u32_e64 v5, s0, s9, v127, s0
	global_wb scope:SCOPE_SE
	s_wait_dscnt 0x0
	s_barrier_signal -1
	s_barrier_wait -1
	global_inv scope:SCOPE_SE
	s_clause 0x1
	global_load_b128 v[28:31], v[0:1], off offset:6400
	global_load_b128 v[32:35], v[4:5], off offset:6400
	v_add_co_u32 v0, s0, s8, v2
	s_wait_alu 0xf1ff
	v_add_co_ci_u32_e64 v1, s0, s9, v3, s0
	v_lshlrev_b32_e32 v46, 1, v69
	s_clause 0x5
	global_load_b128 v[16:19], v[50:51], off offset:6400
	global_load_b128 v[20:23], v[67:68], off offset:6400
	;; [unrolled: 1-line block ×6, first 2 shown]
	v_lshlrev_b64_e32 v[0:1], 3, v[46:47]
	v_lshlrev_b32_e32 v46, 1, v71
	s_delay_alu instid0(VALU_DEP_1) | instskip(NEXT) | instid1(VALU_DEP_3)
	v_lshlrev_b64_e32 v[2:3], 3, v[46:47]
	v_add_co_u32 v0, s0, s8, v0
	s_wait_alu 0xf1ff
	s_delay_alu instid0(VALU_DEP_4) | instskip(NEXT) | instid1(VALU_DEP_3)
	v_add_co_ci_u32_e64 v1, s0, s9, v1, s0
	v_add_co_u32 v2, s0, s8, v2
	s_wait_alu 0xf1ff
	v_add_co_ci_u32_e64 v3, s0, s9, v3, s0
	s_clause 0x1
	global_load_b128 v[71:74], v[0:1], off offset:6400
	global_load_b128 v[75:78], v[2:3], off offset:6400
	ds_load_2addr_b64 v[79:82], v41 offset0:76 offset1:157
	ds_load_2addr_b64 v[83:86], v65 offset0:118 offset1:199
	ds_load_2addr_b64 v[0:3], v54 offset1:81
	ds_load_b64 v[52:53], v54 offset:6480
	ds_load_2addr_b64 v[87:90], v61 offset0:84 offset1:165
	ds_load_2addr_b32 v[119:120], v63 offset0:246 offset1:247
	ds_load_2addr_b64 v[91:94], v59 offset0:110 offset1:191
	ds_load_2addr_b64 v[95:98], v57 offset0:152 offset1:233
	;; [unrolled: 1-line block ×10, first 2 shown]
	global_wb scope:SCOPE_SE
	s_wait_loadcnt_dscnt 0x0
	s_barrier_signal -1
	s_barrier_wait -1
	global_inv scope:SCOPE_SE
	v_mul_f32_e32 v126, v94, v29
	v_mul_f32_e32 v29, v93, v29
	;; [unrolled: 1-line block ×3, first 2 shown]
	v_dual_mul_f32 v31, v97, v31 :: v_dual_mul_f32 v128, v100, v33
	v_mul_f32_e32 v33, v99, v33
	v_mul_f32_e32 v129, v104, v35
	;; [unrolled: 1-line block ×5, first 2 shown]
	v_dual_mul_f32 v19, v83, v19 :: v_dual_mul_f32 v122, v82, v21
	v_mul_f32_e32 v21, v81, v21
	v_mul_f32_e32 v123, v86, v23
	v_dual_mul_f32 v23, v85, v23 :: v_dual_mul_f32 v124, v92, v25
	v_mul_f32_e32 v25, v91, v25
	v_mul_f32_e32 v125, v96, v27
	;; [unrolled: 1-line block ×3, first 2 shown]
	v_dual_mul_f32 v35, v103, v35 :: v_dual_mul_f32 v130, v102, v37
	v_dual_mul_f32 v37, v101, v37 :: v_dual_fmac_f32 v46, v79, v16
	v_fma_f32 v16, v80, v16, -v17
	v_fmac_f32_e32 v121, v83, v18
	v_fma_f32 v79, v84, v18, -v19
	v_mul_f32_e32 v80, v106, v39
	v_mul_f32_e32 v17, v105, v39
	;; [unrolled: 1-line block ×4, first 2 shown]
	v_fmac_f32_e32 v122, v81, v20
	v_fma_f32 v20, v82, v20, -v21
	v_mul_f32_e32 v21, v51, v88
	v_mul_f32_e32 v39, v51, v87
	;; [unrolled: 1-line block ×4, first 2 shown]
	v_fmac_f32_e32 v123, v85, v22
	v_fma_f32 v23, v86, v22, -v23
	v_mul_f32_e32 v22, v120, v68
	v_mul_f32_e32 v68, v68, v119
	;; [unrolled: 1-line block ×3, first 2 shown]
	v_dual_mul_f32 v72, v107, v72 :: v_dual_mul_f32 v81, v112, v74
	v_mul_f32_e32 v74, v111, v74
	v_mul_f32_e32 v82, v110, v76
	;; [unrolled: 1-line block ×3, first 2 shown]
	v_fmac_f32_e32 v124, v91, v24
	v_fma_f32 v24, v92, v24, -v25
	v_fmac_f32_e32 v125, v95, v26
	v_fma_f32 v25, v96, v26, -v27
	v_mul_f32_e32 v83, v114, v78
	v_mul_f32_e32 v26, v113, v78
	v_fmac_f32_e32 v126, v93, v28
	v_fma_f32 v27, v94, v28, -v29
	v_fmac_f32_e32 v127, v97, v30
	v_fma_f32 v28, v98, v30, -v31
	;; [unrolled: 2-line block ×14, first 2 shown]
	v_dual_add_f32 v26, v0, v18 :: v_dual_add_f32 v39, v18, v21
	v_add_f32_e32 v50, v1, v17
	v_dual_add_f32 v51, v17, v19 :: v_dual_sub_f32 v52, v18, v21
	v_add_f32_e32 v18, v2, v22
	v_add_f32_e32 v53, v22, v49
	v_dual_sub_f32 v67, v34, v33 :: v_dual_add_f32 v68, v3, v34
	v_add_f32_e32 v34, v34, v33
	v_dual_add_f32 v71, v46, v121 :: v_dual_add_f32 v74, v16, v79
	v_add_f32_e32 v76, v122, v123
	v_add_f32_e32 v84, v20, v23
	;; [unrolled: 1-line block ×5, first 2 shown]
	v_sub_f32_e32 v91, v124, v125
	v_dual_add_f32 v93, v126, v127 :: v_dual_add_f32 v96, v27, v28
	v_dual_add_f32 v99, v128, v129 :: v_dual_add_f32 v102, v29, v30
	v_add_f32_e32 v105, v130, v80
	v_add_f32_e32 v108, v31, v32
	v_dual_add_f32 v110, v116, v35 :: v_dual_sub_f32 v111, v35, v36
	v_add_f32_e32 v35, v35, v36
	v_add_f32_e32 v113, v70, v81
	v_dual_add_f32 v119, v82, v83 :: v_dual_add_f32 v124, v37, v38
	v_dual_sub_f32 v69, v22, v49 :: v_dual_add_f32 v22, v4, v46
	v_add_f32_e32 v73, v5, v16
	v_dual_add_f32 v75, v6, v122 :: v_dual_add_f32 v78, v7, v20
	v_dual_add_f32 v89, v9, v24 :: v_dual_add_f32 v92, v10, v126
	;; [unrolled: 1-line block ×4, first 2 shown]
	v_add_f32_e32 v106, v15, v31
	v_dual_sub_f32 v85, v122, v123 :: v_dual_add_f32 v112, v115, v70
	v_sub_f32_e32 v114, v70, v81
	v_add_f32_e32 v70, v117, v82
	v_add_f32_e32 v122, v118, v37
	v_sub_f32_e32 v48, v17, v19
	v_sub_f32_e32 v72, v16, v79
	v_dual_sub_f32 v46, v46, v121 :: v_dual_sub_f32 v77, v20, v23
	v_sub_f32_e32 v88, v24, v25
	v_dual_sub_f32 v94, v27, v28 :: v_dual_sub_f32 v97, v126, v127
	v_dual_sub_f32 v100, v29, v30 :: v_dual_sub_f32 v103, v128, v129
	v_sub_f32_e32 v107, v31, v32
	v_dual_sub_f32 v109, v130, v80 :: v_dual_sub_f32 v120, v37, v38
	v_sub_f32_e32 v82, v82, v83
	v_add_f32_e32 v16, v26, v21
	v_add_f32_e32 v17, v50, v19
	;; [unrolled: 1-line block ×4, first 2 shown]
	v_fma_f32 v0, -0.5, v39, v0
	v_fma_f32 v1, -0.5, v51, v1
	v_fma_f32 v2, -0.5, v53, v2
	v_fmac_f32_e32 v3, -0.5, v34
	v_fma_f32 v4, -0.5, v71, v4
	v_fma_f32 v5, -0.5, v74, v5
	v_fma_f32 v6, -0.5, v76, v6
	v_fmac_f32_e32 v7, -0.5, v84
	v_fma_f32 v8, -0.5, v87, v8
	v_fma_f32 v9, -0.5, v90, v9
	v_fma_f32 v10, -0.5, v93, v10
	v_fmac_f32_e32 v11, -0.5, v96
	v_fma_f32 v12, -0.5, v99, v12
	v_fma_f32 v13, -0.5, v102, v13
	v_fma_f32 v14, -0.5, v105, v14
	v_fmac_f32_e32 v15, -0.5, v108
	v_fma_f32 v34, -0.5, v113, v115
	v_fma_f32 v35, -0.5, v35, v116
	v_fma_f32 v117, -0.5, v119, v117
	v_fmac_f32_e32 v118, -0.5, v124
	v_dual_add_f32 v20, v22, v121 :: v_dual_add_f32 v21, v73, v79
	v_add_f32_e32 v22, v75, v123
	v_add_f32_e32 v23, v78, v23
	;; [unrolled: 1-line block ×3, first 2 shown]
	v_dual_add_f32 v25, v89, v25 :: v_dual_add_f32 v26, v92, v127
	v_dual_add_f32 v27, v95, v28 :: v_dual_add_f32 v28, v98, v129
	;; [unrolled: 1-line block ×3, first 2 shown]
	v_add_f32_e32 v31, v106, v32
	v_dual_add_f32 v33, v110, v36 :: v_dual_add_f32 v32, v112, v81
	v_add_f32_e32 v36, v70, v83
	v_dual_add_f32 v37, v122, v38 :: v_dual_fmamk_f32 v38, v48, 0xbf5db3d7, v0
	v_dual_fmac_f32 v0, 0x3f5db3d7, v48 :: v_dual_fmamk_f32 v39, v52, 0x3f5db3d7, v1
	v_dual_fmac_f32 v1, 0xbf5db3d7, v52 :: v_dual_fmamk_f32 v48, v67, 0xbf5db3d7, v2
	;; [unrolled: 1-line block ×7, first 2 shown]
	v_fmac_f32_e32 v7, 0xbf5db3d7, v85
	v_fmamk_f32 v67, v88, 0xbf5db3d7, v8
	v_fmac_f32_e32 v8, 0x3f5db3d7, v88
	v_fmamk_f32 v68, v91, 0x3f5db3d7, v9
	;; [unrolled: 2-line block ×11, first 2 shown]
	v_dual_fmac_f32 v117, 0x3f5db3d7, v120 :: v_dual_fmamk_f32 v78, v82, 0x3f5db3d7, v118
	v_fmac_f32_e32 v118, 0xbf5db3d7, v82
	ds_store_2addr_b64 v54, v[16:17], v[18:19] offset1:81
	ds_store_2addr_b64 v54, v[20:21], v[22:23] offset0:162 offset1:243
	ds_store_2addr_b64 v64, v[24:25], v[26:27] offset0:68 offset1:149
	;; [unrolled: 1-line block ×14, first 2 shown]
	global_wb scope:SCOPE_SE
	s_wait_dscnt 0x0
	s_barrier_signal -1
	s_barrier_wait -1
	global_inv scope:SCOPE_SE
	s_and_saveexec_b32 s0, vcc_lo
	s_cbranch_execz .LBB0_21
; %bb.20:
	v_mul_lo_u32 v0, s3, v44
	v_mul_lo_u32 v1, s2, v45
	v_mad_co_u64_u32 v[4:5], null, s2, v44, 0
	v_dual_mov_b32 v41, v47 :: v_dual_add_nc_u32 v46, 0x51, v40
	v_lshlrev_b64_e32 v[8:9], 3, v[42:43]
	v_lshl_add_u32 v18, v40, 3, 0
	s_delay_alu instid0(VALU_DEP_3)
	v_lshlrev_b64_e32 v[12:13], 3, v[40:41]
	v_add3_u32 v5, v5, v1, v0
	v_lshlrev_b64_e32 v[14:15], 3, v[46:47]
	ds_load_2addr_b64 v[0:3], v18 offset1:81
	v_add_nc_u32_e32 v46, 0xa2, v40
	v_add_nc_u32_e32 v19, 0x800, v18
	v_lshlrev_b64_e32 v[10:11], 3, v[4:5]
	ds_load_2addr_b64 v[4:7], v18 offset0:162 offset1:243
	v_add_co_u32 v16, vcc_lo, s6, v10
	s_wait_alu 0xfffd
	v_add_co_ci_u32_e32 v17, vcc_lo, s7, v11, vcc_lo
	v_lshlrev_b64_e32 v[10:11], 3, v[46:47]
	s_delay_alu instid0(VALU_DEP_3) | instskip(SKIP_1) | instid1(VALU_DEP_3)
	v_add_co_u32 v24, vcc_lo, v16, v8
	s_wait_alu 0xfffd
	v_add_co_ci_u32_e32 v25, vcc_lo, v17, v9, vcc_lo
	v_add_nc_u32_e32 v46, 0xf3, v40
	s_delay_alu instid0(VALU_DEP_3) | instskip(SKIP_1) | instid1(VALU_DEP_3)
	v_add_co_u32 v8, vcc_lo, v24, v12
	s_wait_alu 0xfffd
	v_add_co_ci_u32_e32 v9, vcc_lo, v25, v13, vcc_lo
	v_add_co_u32 v12, vcc_lo, v24, v14
	s_wait_alu 0xfffd
	v_add_co_ci_u32_e32 v13, vcc_lo, v25, v15, vcc_lo
	v_lshlrev_b64_e32 v[14:15], 3, v[46:47]
	v_add_co_u32 v10, vcc_lo, v24, v10
	v_add_nc_u32_e32 v46, 0x144, v40
	s_wait_alu 0xfffd
	v_add_co_ci_u32_e32 v11, vcc_lo, v25, v11, vcc_lo
	s_delay_alu instid0(VALU_DEP_4)
	v_add_co_u32 v14, vcc_lo, v24, v14
	s_wait_alu 0xfffd
	v_add_co_ci_u32_e32 v15, vcc_lo, v25, v15, vcc_lo
	v_lshlrev_b64_e32 v[16:17], 3, v[46:47]
	v_add_nc_u32_e32 v46, 0x195, v40
	s_wait_dscnt 0x1
	s_clause 0x1
	global_store_b64 v[8:9], v[0:1], off
	global_store_b64 v[12:13], v[2:3], off
	s_wait_dscnt 0x0
	s_clause 0x1
	global_store_b64 v[10:11], v[4:5], off
	global_store_b64 v[14:15], v[6:7], off
	v_add_nc_u32_e32 v4, 0xc00, v18
	ds_load_2addr_b64 v[0:3], v19 offset0:68 offset1:149
	v_add_nc_u32_e32 v19, 0x1000, v18
	v_lshlrev_b64_e32 v[8:9], 3, v[46:47]
	v_add_nc_u32_e32 v46, 0x1e6, v40
	ds_load_2addr_b64 v[4:7], v4 offset0:102 offset1:183
	v_add_co_u32 v10, vcc_lo, v24, v16
	s_wait_alu 0xfffd
	v_add_co_ci_u32_e32 v11, vcc_lo, v25, v17, vcc_lo
	v_lshlrev_b64_e32 v[12:13], 3, v[46:47]
	v_add_nc_u32_e32 v46, 0x237, v40
	v_add_co_u32 v8, vcc_lo, v24, v8
	s_wait_alu 0xfffd
	v_add_co_ci_u32_e32 v9, vcc_lo, v25, v9, vcc_lo
	s_delay_alu instid0(VALU_DEP_3) | instskip(SKIP_4) | instid1(VALU_DEP_4)
	v_lshlrev_b64_e32 v[14:15], 3, v[46:47]
	v_add_co_u32 v12, vcc_lo, v24, v12
	v_add_nc_u32_e32 v46, 0x288, v40
	s_wait_alu 0xfffd
	v_add_co_ci_u32_e32 v13, vcc_lo, v25, v13, vcc_lo
	v_add_co_u32 v14, vcc_lo, v24, v14
	s_wait_alu 0xfffd
	v_add_co_ci_u32_e32 v15, vcc_lo, v25, v15, vcc_lo
	v_lshlrev_b64_e32 v[16:17], 3, v[46:47]
	v_add_nc_u32_e32 v46, 0x2d9, v40
	s_wait_dscnt 0x1
	s_clause 0x1
	global_store_b64 v[10:11], v[0:1], off
	global_store_b64 v[8:9], v[2:3], off
	s_wait_dscnt 0x0
	s_clause 0x1
	global_store_b64 v[12:13], v[4:5], off
	global_store_b64 v[14:15], v[6:7], off
	v_add_nc_u32_e32 v4, 0x1800, v18
	ds_load_2addr_b64 v[0:3], v19 offset0:136 offset1:217
	v_add_nc_u32_e32 v19, 0x1c00, v18
	v_lshlrev_b64_e32 v[8:9], 3, v[46:47]
	v_add_nc_u32_e32 v46, 0x32a, v40
	ds_load_2addr_b64 v[4:7], v4 offset0:42 offset1:123
	v_add_co_u32 v10, vcc_lo, v24, v16
	s_wait_alu 0xfffd
	v_add_co_ci_u32_e32 v11, vcc_lo, v25, v17, vcc_lo
	v_lshlrev_b64_e32 v[12:13], 3, v[46:47]
	v_add_nc_u32_e32 v46, 0x37b, v40
	v_add_co_u32 v8, vcc_lo, v24, v8
	s_wait_alu 0xfffd
	v_add_co_ci_u32_e32 v9, vcc_lo, v25, v9, vcc_lo
	s_delay_alu instid0(VALU_DEP_3) | instskip(SKIP_4) | instid1(VALU_DEP_4)
	v_lshlrev_b64_e32 v[14:15], 3, v[46:47]
	v_add_co_u32 v12, vcc_lo, v24, v12
	v_add_nc_u32_e32 v46, 0x3cc, v40
	s_wait_alu 0xfffd
	v_add_co_ci_u32_e32 v13, vcc_lo, v25, v13, vcc_lo
	;; [unrolled: 33-line block ×4, first 2 shown]
	v_add_co_u32 v14, vcc_lo, v24, v14
	s_wait_alu 0xfffd
	v_add_co_ci_u32_e32 v15, vcc_lo, v25, v15, vcc_lo
	v_lshlrev_b64_e32 v[16:17], 3, v[46:47]
	v_add_nc_u32_e32 v46, 0x6a5, v40
	s_wait_dscnt 0x1
	s_clause 0x1
	global_store_b64 v[10:11], v[0:1], off
	global_store_b64 v[8:9], v[2:3], off
	s_wait_dscnt 0x0
	s_clause 0x1
	global_store_b64 v[12:13], v[4:5], off
	global_store_b64 v[14:15], v[6:7], off
	v_add_nc_u32_e32 v4, 0x3400, v18
	ds_load_2addr_b64 v[0:3], v19 offset0:84 offset1:165
	v_add_nc_u32_e32 v19, 0x3800, v18
	v_lshlrev_b64_e32 v[8:9], 3, v[46:47]
	v_add_nc_u32_e32 v46, 0x6f6, v40
	ds_load_2addr_b64 v[4:7], v4 offset0:118 offset1:199
	v_add_co_u32 v10, vcc_lo, v24, v16
	s_wait_alu 0xfffd
	v_add_co_ci_u32_e32 v11, vcc_lo, v25, v17, vcc_lo
	v_lshlrev_b64_e32 v[12:13], 3, v[46:47]
	v_add_nc_u32_e32 v46, 0x747, v40
	v_add_co_u32 v8, vcc_lo, v24, v8
	s_wait_alu 0xfffd
	v_add_co_ci_u32_e32 v9, vcc_lo, v25, v9, vcc_lo
	s_delay_alu instid0(VALU_DEP_3) | instskip(SKIP_4) | instid1(VALU_DEP_3)
	v_lshlrev_b64_e32 v[14:15], 3, v[46:47]
	v_add_nc_u32_e32 v46, 0x798, v40
	v_add_co_u32 v12, vcc_lo, v24, v12
	s_wait_alu 0xfffd
	v_add_co_ci_u32_e32 v13, vcc_lo, v25, v13, vcc_lo
	v_lshlrev_b64_e32 v[16:17], 3, v[46:47]
	v_add_nc_u32_e32 v46, 0x7e9, v40
	v_add_co_u32 v14, vcc_lo, v24, v14
	s_wait_alu 0xfffd
	v_add_co_ci_u32_e32 v15, vcc_lo, v25, v15, vcc_lo
	s_wait_dscnt 0x1
	s_clause 0x1
	global_store_b64 v[10:11], v[0:1], off
	global_store_b64 v[8:9], v[2:3], off
	s_wait_dscnt 0x0
	s_clause 0x1
	global_store_b64 v[12:13], v[4:5], off
	global_store_b64 v[14:15], v[6:7], off
	v_lshlrev_b64_e32 v[4:5], 3, v[46:47]
	v_add_nc_u32_e32 v46, 0x83a, v40
	v_add_co_u32 v12, vcc_lo, v24, v16
	v_add_nc_u32_e32 v6, 0x4000, v18
	s_wait_alu 0xfffd
	v_add_co_ci_u32_e32 v13, vcc_lo, v25, v17, vcc_lo
	v_lshlrev_b64_e32 v[8:9], 3, v[46:47]
	v_add_nc_u32_e32 v46, 0x88b, v40
	v_add_co_u32 v14, vcc_lo, v24, v4
	v_add_nc_u32_e32 v10, 0x4400, v18
	ds_load_2addr_b64 v[0:3], v19 offset0:152 offset1:233
	s_wait_alu 0xfffd
	v_add_co_ci_u32_e32 v15, vcc_lo, v25, v5, vcc_lo
	ds_load_2addr_b64 v[4:7], v6 offset0:58 offset1:139
	v_lshlrev_b64_e32 v[16:17], 3, v[46:47]
	v_add_nc_u32_e32 v46, 0x8dc, v40
	v_add_co_u32 v18, vcc_lo, v24, v8
	s_wait_alu 0xfffd
	v_add_co_ci_u32_e32 v19, vcc_lo, v25, v9, vcc_lo
	ds_load_2addr_b64 v[8:11], v10 offset0:92 offset1:173
	v_lshlrev_b64_e32 v[20:21], 3, v[46:47]
	v_add_nc_u32_e32 v46, 0x92d, v40
	v_add_co_u32 v16, vcc_lo, v24, v16
	s_wait_alu 0xfffd
	v_add_co_ci_u32_e32 v17, vcc_lo, v25, v17, vcc_lo
	s_delay_alu instid0(VALU_DEP_3) | instskip(SKIP_3) | instid1(VALU_DEP_3)
	v_lshlrev_b64_e32 v[22:23], 3, v[46:47]
	v_add_co_u32 v20, vcc_lo, v24, v20
	s_wait_alu 0xfffd
	v_add_co_ci_u32_e32 v21, vcc_lo, v25, v21, vcc_lo
	v_add_co_u32 v22, vcc_lo, v24, v22
	s_wait_alu 0xfffd
	v_add_co_ci_u32_e32 v23, vcc_lo, v25, v23, vcc_lo
	s_wait_dscnt 0x2
	s_clause 0x1
	global_store_b64 v[12:13], v[0:1], off
	global_store_b64 v[14:15], v[2:3], off
	s_wait_dscnt 0x1
	s_clause 0x1
	global_store_b64 v[18:19], v[4:5], off
	global_store_b64 v[16:17], v[6:7], off
	;; [unrolled: 4-line block ×3, first 2 shown]
.LBB0_21:
	s_nop 0
	s_sendmsg sendmsg(MSG_DEALLOC_VGPRS)
	s_endpgm
	.section	.rodata,"a",@progbits
	.p2align	6, 0x0
	.amdhsa_kernel fft_rtc_back_len2430_factors_10_3_3_3_3_3_wgs_81_tpt_81_halfLds_sp_op_CI_CI_unitstride_sbrr_C2R_dirReg
		.amdhsa_group_segment_fixed_size 0
		.amdhsa_private_segment_fixed_size 0
		.amdhsa_kernarg_size 104
		.amdhsa_user_sgpr_count 2
		.amdhsa_user_sgpr_dispatch_ptr 0
		.amdhsa_user_sgpr_queue_ptr 0
		.amdhsa_user_sgpr_kernarg_segment_ptr 1
		.amdhsa_user_sgpr_dispatch_id 0
		.amdhsa_user_sgpr_private_segment_size 0
		.amdhsa_wavefront_size32 1
		.amdhsa_uses_dynamic_stack 0
		.amdhsa_enable_private_segment 0
		.amdhsa_system_sgpr_workgroup_id_x 1
		.amdhsa_system_sgpr_workgroup_id_y 0
		.amdhsa_system_sgpr_workgroup_id_z 0
		.amdhsa_system_sgpr_workgroup_info 0
		.amdhsa_system_vgpr_workitem_id 0
		.amdhsa_next_free_vgpr 154
		.amdhsa_next_free_sgpr 39
		.amdhsa_reserve_vcc 1
		.amdhsa_float_round_mode_32 0
		.amdhsa_float_round_mode_16_64 0
		.amdhsa_float_denorm_mode_32 3
		.amdhsa_float_denorm_mode_16_64 3
		.amdhsa_fp16_overflow 0
		.amdhsa_workgroup_processor_mode 1
		.amdhsa_memory_ordered 1
		.amdhsa_forward_progress 0
		.amdhsa_round_robin_scheduling 0
		.amdhsa_exception_fp_ieee_invalid_op 0
		.amdhsa_exception_fp_denorm_src 0
		.amdhsa_exception_fp_ieee_div_zero 0
		.amdhsa_exception_fp_ieee_overflow 0
		.amdhsa_exception_fp_ieee_underflow 0
		.amdhsa_exception_fp_ieee_inexact 0
		.amdhsa_exception_int_div_zero 0
	.end_amdhsa_kernel
	.text
.Lfunc_end0:
	.size	fft_rtc_back_len2430_factors_10_3_3_3_3_3_wgs_81_tpt_81_halfLds_sp_op_CI_CI_unitstride_sbrr_C2R_dirReg, .Lfunc_end0-fft_rtc_back_len2430_factors_10_3_3_3_3_3_wgs_81_tpt_81_halfLds_sp_op_CI_CI_unitstride_sbrr_C2R_dirReg
                                        ; -- End function
	.section	.AMDGPU.csdata,"",@progbits
; Kernel info:
; codeLenInByte = 20512
; NumSgprs: 41
; NumVgprs: 154
; ScratchSize: 0
; MemoryBound: 0
; FloatMode: 240
; IeeeMode: 1
; LDSByteSize: 0 bytes/workgroup (compile time only)
; SGPRBlocks: 5
; VGPRBlocks: 19
; NumSGPRsForWavesPerEU: 41
; NumVGPRsForWavesPerEU: 154
; Occupancy: 9
; WaveLimiterHint : 1
; COMPUTE_PGM_RSRC2:SCRATCH_EN: 0
; COMPUTE_PGM_RSRC2:USER_SGPR: 2
; COMPUTE_PGM_RSRC2:TRAP_HANDLER: 0
; COMPUTE_PGM_RSRC2:TGID_X_EN: 1
; COMPUTE_PGM_RSRC2:TGID_Y_EN: 0
; COMPUTE_PGM_RSRC2:TGID_Z_EN: 0
; COMPUTE_PGM_RSRC2:TIDIG_COMP_CNT: 0
	.text
	.p2alignl 7, 3214868480
	.fill 96, 4, 3214868480
	.type	__hip_cuid_fb244e344934ea36,@object ; @__hip_cuid_fb244e344934ea36
	.section	.bss,"aw",@nobits
	.globl	__hip_cuid_fb244e344934ea36
__hip_cuid_fb244e344934ea36:
	.byte	0                               ; 0x0
	.size	__hip_cuid_fb244e344934ea36, 1

	.ident	"AMD clang version 19.0.0git (https://github.com/RadeonOpenCompute/llvm-project roc-6.4.0 25133 c7fe45cf4b819c5991fe208aaa96edf142730f1d)"
	.section	".note.GNU-stack","",@progbits
	.addrsig
	.addrsig_sym __hip_cuid_fb244e344934ea36
	.amdgpu_metadata
---
amdhsa.kernels:
  - .args:
      - .actual_access:  read_only
        .address_space:  global
        .offset:         0
        .size:           8
        .value_kind:     global_buffer
      - .offset:         8
        .size:           8
        .value_kind:     by_value
      - .actual_access:  read_only
        .address_space:  global
        .offset:         16
        .size:           8
        .value_kind:     global_buffer
      - .actual_access:  read_only
        .address_space:  global
        .offset:         24
        .size:           8
        .value_kind:     global_buffer
      - .actual_access:  read_only
        .address_space:  global
        .offset:         32
        .size:           8
        .value_kind:     global_buffer
      - .offset:         40
        .size:           8
        .value_kind:     by_value
      - .actual_access:  read_only
        .address_space:  global
        .offset:         48
        .size:           8
        .value_kind:     global_buffer
      - .actual_access:  read_only
        .address_space:  global
        .offset:         56
        .size:           8
        .value_kind:     global_buffer
      - .offset:         64
        .size:           4
        .value_kind:     by_value
      - .actual_access:  read_only
        .address_space:  global
        .offset:         72
        .size:           8
        .value_kind:     global_buffer
      - .actual_access:  read_only
        .address_space:  global
        .offset:         80
        .size:           8
        .value_kind:     global_buffer
      - .actual_access:  read_only
        .address_space:  global
        .offset:         88
        .size:           8
        .value_kind:     global_buffer
      - .actual_access:  write_only
        .address_space:  global
        .offset:         96
        .size:           8
        .value_kind:     global_buffer
    .group_segment_fixed_size: 0
    .kernarg_segment_align: 8
    .kernarg_segment_size: 104
    .language:       OpenCL C
    .language_version:
      - 2
      - 0
    .max_flat_workgroup_size: 81
    .name:           fft_rtc_back_len2430_factors_10_3_3_3_3_3_wgs_81_tpt_81_halfLds_sp_op_CI_CI_unitstride_sbrr_C2R_dirReg
    .private_segment_fixed_size: 0
    .sgpr_count:     41
    .sgpr_spill_count: 0
    .symbol:         fft_rtc_back_len2430_factors_10_3_3_3_3_3_wgs_81_tpt_81_halfLds_sp_op_CI_CI_unitstride_sbrr_C2R_dirReg.kd
    .uniform_work_group_size: 1
    .uses_dynamic_stack: false
    .vgpr_count:     154
    .vgpr_spill_count: 0
    .wavefront_size: 32
    .workgroup_processor_mode: 1
amdhsa.target:   amdgcn-amd-amdhsa--gfx1201
amdhsa.version:
  - 1
  - 2
...

	.end_amdgpu_metadata
